;; amdgpu-corpus repo=ROCm/rocSPARSE kind=compiled arch=gfx1030 opt=O3
	.amdgcn_target "amdgcn-amd-amdhsa--gfx1030"
	.amdhsa_code_object_version 6
	.section	.text._ZN9rocsparseL12gemvi_kernelILj1024ELj32EifEEvT1_S1_NS_24const_host_device_scalarIT2_EEPKS3_lS1_S6_PKS1_S4_PS3_21rocsparse_index_base_b,"axG",@progbits,_ZN9rocsparseL12gemvi_kernelILj1024ELj32EifEEvT1_S1_NS_24const_host_device_scalarIT2_EEPKS3_lS1_S6_PKS1_S4_PS3_21rocsparse_index_base_b,comdat
	.globl	_ZN9rocsparseL12gemvi_kernelILj1024ELj32EifEEvT1_S1_NS_24const_host_device_scalarIT2_EEPKS3_lS1_S6_PKS1_S4_PS3_21rocsparse_index_base_b ; -- Begin function _ZN9rocsparseL12gemvi_kernelILj1024ELj32EifEEvT1_S1_NS_24const_host_device_scalarIT2_EEPKS3_lS1_S6_PKS1_S4_PS3_21rocsparse_index_base_b
	.p2align	8
	.type	_ZN9rocsparseL12gemvi_kernelILj1024ELj32EifEEvT1_S1_NS_24const_host_device_scalarIT2_EEPKS3_lS1_S6_PKS1_S4_PS3_21rocsparse_index_base_b,@function
_ZN9rocsparseL12gemvi_kernelILj1024ELj32EifEEvT1_S1_NS_24const_host_device_scalarIT2_EEPKS3_lS1_S6_PKS1_S4_PS3_21rocsparse_index_base_b: ; @_ZN9rocsparseL12gemvi_kernelILj1024ELj32EifEEvT1_S1_NS_24const_host_device_scalarIT2_EEPKS3_lS1_S6_PKS1_S4_PS3_21rocsparse_index_base_b
; %bb.0:
	s_clause 0x2
	s_load_dwordx2 s[12:13], s[4:5], 0x48
	s_load_dwordx2 s[8:9], s[4:5], 0x8
	;; [unrolled: 1-line block ×3, first 2 shown]
	s_waitcnt lgkmcnt(0)
	s_bitcmp1_b32 s13, 0
	s_cselect_b32 s0, -1, 0
	s_and_b32 vcc_lo, exec_lo, s0
	s_xor_b32 s0, s0, -1
	s_cbranch_vccnz .LBB0_2
; %bb.1:
	s_load_dword s8, s[8:9], 0x0
.LBB0_2:
	s_andn2_b32 vcc_lo, exec_lo, s0
	s_cbranch_vccnz .LBB0_4
; %bb.3:
	s_load_dword s10, s[10:11], 0x0
.LBB0_4:
	s_waitcnt lgkmcnt(0)
	v_cmp_neq_f32_e64 s0, s8, 0
	v_cmp_neq_f32_e64 s1, s10, 1.0
	s_or_b32 s0, s0, s1
	s_andn2_b32 vcc_lo, exec_lo, s0
	s_cbranch_vccnz .LBB0_25
; %bb.5:
	s_load_dword s0, s[4:5], 0x0
	v_and_b32_e32 v6, 31, v0
	v_mov_b32_e32 v7, 0
	v_lshl_or_b32 v1, s6, 5, v6
	s_mov_b32 s6, exec_lo
	s_waitcnt lgkmcnt(0)
	v_cmp_le_i32_e32 vcc_lo, s0, v1
	v_cmpx_gt_i32_e64 s0, v1
	s_cbranch_execz .LBB0_11
; %bb.6:
	s_load_dword s9, s[4:5], 0x20
	v_lshrrev_b32_e32 v8, 5, v0
	v_mov_b32_e32 v7, 0
	s_mov_b32 s7, exec_lo
	s_waitcnt lgkmcnt(0)
	v_cmpx_gt_i32_e64 s9, v8
	s_cbranch_execz .LBB0_10
; %bb.7:
	s_clause 0x1
	s_load_dwordx4 s[0:3], s[4:5], 0x10
	s_load_dwordx4 s[16:19], s[4:5], 0x28
	v_ashrrev_i32_e32 v2, 31, v1
	v_lshrrev_b32_e32 v4, 3, v0
	v_mov_b32_e32 v7, 0
	s_mov_b32 s11, 0
	v_lshlrev_b64 v[2:3], 2, v[1:2]
	v_and_b32_e32 v4, 0x7c, v4
	s_waitcnt lgkmcnt(0)
	v_add_co_u32 v9, s0, s0, v2
	v_add_co_ci_u32_e64 v10, null, s1, v3, s0
	v_add_co_u32 v2, s0, s16, v4
	v_add_co_ci_u32_e64 v3, null, s17, 0, s0
	;; [unrolled: 2-line block ×3, first 2 shown]
	s_inst_prefetch 0x1
	.p2align	6
.LBB0_8:                                ; =>This Inner Loop Header: Depth=1
	global_load_dword v11, v[4:5], off
	v_add_nc_u32_e32 v8, 32, v8
	v_cmp_le_i32_e64 s1, s9, v8
	s_or_b32 s11, s1, s11
	s_waitcnt vmcnt(0)
	v_subrev_nc_u32_e32 v11, s12, v11
	v_ashrrev_i32_e32 v13, 31, v11
	v_mul_lo_u32 v14, s3, v11
	v_mad_u64_u32 v[11:12], null, s2, v11, 0
	v_mul_lo_u32 v13, s2, v13
	v_add3_u32 v12, v12, v13, v14
	v_lshlrev_b64 v[11:12], 2, v[11:12]
	v_add_co_u32 v11, s0, v9, v11
	v_add_co_ci_u32_e64 v12, null, v10, v12, s0
	global_load_dword v13, v[2:3], off
	global_load_dword v11, v[11:12], off
	v_add_co_u32 v2, s0, 0x80, v2
	v_add_co_ci_u32_e64 v3, null, 0, v3, s0
	v_add_co_u32 v4, s0, 0x80, v4
	v_add_co_ci_u32_e64 v5, null, 0, v5, s0
	s_waitcnt vmcnt(0)
	v_fmac_f32_e32 v7, v13, v11
	s_andn2_b32 exec_lo, exec_lo, s11
	s_cbranch_execnz .LBB0_8
; %bb.9:
	s_inst_prefetch 0x2
	s_or_b32 exec_lo, exec_lo, s11
.LBB0_10:
	s_or_b32 exec_lo, exec_lo, s7
.LBB0_11:
	s_or_b32 exec_lo, exec_lo, s6
	v_lshlrev_b32_e32 v2, 2, v0
	s_mov_b32 s1, exec_lo
	ds_write_b32 v2, v7
	s_waitcnt lgkmcnt(0)
	s_barrier
	buffer_gl0_inv
	v_cmpx_gt_u32_e32 0x200, v0
	s_cbranch_execz .LBB0_13
; %bb.12:
	ds_read2st64_b32 v[3:4], v2 offset1:8
	s_waitcnt lgkmcnt(0)
	v_add_f32_e32 v3, v4, v3
	ds_write_b32 v2, v3
.LBB0_13:
	s_or_b32 exec_lo, exec_lo, s1
	s_mov_b32 s1, exec_lo
	s_waitcnt lgkmcnt(0)
	s_barrier
	buffer_gl0_inv
	v_cmpx_gt_u32_e32 0x100, v0
	s_cbranch_execz .LBB0_15
; %bb.14:
	ds_read2st64_b32 v[3:4], v2 offset1:4
	s_waitcnt lgkmcnt(0)
	v_add_f32_e32 v3, v4, v3
	ds_write_b32 v2, v3
.LBB0_15:
	s_or_b32 exec_lo, exec_lo, s1
	s_mov_b32 s1, exec_lo
	;; [unrolled: 13-line block ×3, first 2 shown]
	s_waitcnt lgkmcnt(0)
	s_barrier
	buffer_gl0_inv
	v_cmpx_gt_u32_e32 64, v0
	s_cbranch_execz .LBB0_19
; %bb.18:
	ds_read2st64_b32 v[3:4], v2 offset1:1
	s_waitcnt lgkmcnt(0)
	v_add_f32_e32 v3, v4, v3
	ds_write_b32 v2, v3
.LBB0_19:
	s_or_b32 exec_lo, exec_lo, s1
	v_cmp_lt_u32_e64 s0, 31, v0
	v_cmp_gt_u32_e64 s1, 32, v0
	v_lshlrev_b32_e32 v0, 2, v6
	s_waitcnt lgkmcnt(0)
	s_barrier
	buffer_gl0_inv
	s_and_saveexec_b32 s2, s1
	s_cbranch_execz .LBB0_21
; %bb.20:
	ds_read_b32 v3, v0 offset:128
	ds_read_b32 v4, v2
	s_waitcnt lgkmcnt(0)
	v_add_f32_e32 v3, v3, v4
	ds_write_b32 v2, v3
.LBB0_21:
	s_or_b32 exec_lo, exec_lo, s2
	s_nor_b32 s0, s0, vcc_lo
	s_and_saveexec_b32 s1, s0
	s_cbranch_execz .LBB0_25
; %bb.22:
	s_load_dwordx2 s[0:1], s[4:5], 0x40
	ds_read_b32 v0, v0
	v_cmp_eq_f32_e64 s2, s10, 0
	v_ashrrev_i32_e32 v2, 31, v1
	s_and_b32 vcc_lo, exec_lo, s2
	s_mov_b32 s2, 0
	s_cbranch_vccz .LBB0_26
; %bb.23:
	v_lshlrev_b64 v[3:4], 2, v[1:2]
	s_waitcnt lgkmcnt(0)
	v_mul_f32_e32 v5, s8, v0
	v_add_co_u32 v3, vcc_lo, s0, v3
	v_add_co_ci_u32_e64 v4, null, s1, v4, vcc_lo
	global_store_dword v[3:4], v5, off
	s_andn2_b32 vcc_lo, exec_lo, s2
	s_cbranch_vccnz .LBB0_25
.LBB0_24:
	v_lshlrev_b64 v[1:2], 2, v[1:2]
	s_waitcnt lgkmcnt(0)
	v_add_co_u32 v1, vcc_lo, s0, v1
	v_add_co_ci_u32_e64 v2, null, s1, v2, vcc_lo
	global_load_dword v3, v[1:2], off
	s_waitcnt vmcnt(0)
	v_mul_f32_e32 v3, s10, v3
	v_fmac_f32_e32 v3, s8, v0
	global_store_dword v[1:2], v3, off
.LBB0_25:
	s_endpgm
.LBB0_26:
	s_branch .LBB0_24
	.section	.rodata,"a",@progbits
	.p2align	6, 0x0
	.amdhsa_kernel _ZN9rocsparseL12gemvi_kernelILj1024ELj32EifEEvT1_S1_NS_24const_host_device_scalarIT2_EEPKS3_lS1_S6_PKS1_S4_PS3_21rocsparse_index_base_b
		.amdhsa_group_segment_fixed_size 4096
		.amdhsa_private_segment_fixed_size 0
		.amdhsa_kernarg_size 80
		.amdhsa_user_sgpr_count 6
		.amdhsa_user_sgpr_private_segment_buffer 1
		.amdhsa_user_sgpr_dispatch_ptr 0
		.amdhsa_user_sgpr_queue_ptr 0
		.amdhsa_user_sgpr_kernarg_segment_ptr 1
		.amdhsa_user_sgpr_dispatch_id 0
		.amdhsa_user_sgpr_flat_scratch_init 0
		.amdhsa_user_sgpr_private_segment_size 0
		.amdhsa_wavefront_size32 1
		.amdhsa_uses_dynamic_stack 0
		.amdhsa_system_sgpr_private_segment_wavefront_offset 0
		.amdhsa_system_sgpr_workgroup_id_x 1
		.amdhsa_system_sgpr_workgroup_id_y 0
		.amdhsa_system_sgpr_workgroup_id_z 0
		.amdhsa_system_sgpr_workgroup_info 0
		.amdhsa_system_vgpr_workitem_id 0
		.amdhsa_next_free_vgpr 15
		.amdhsa_next_free_sgpr 20
		.amdhsa_reserve_vcc 1
		.amdhsa_reserve_flat_scratch 0
		.amdhsa_float_round_mode_32 0
		.amdhsa_float_round_mode_16_64 0
		.amdhsa_float_denorm_mode_32 3
		.amdhsa_float_denorm_mode_16_64 3
		.amdhsa_dx10_clamp 1
		.amdhsa_ieee_mode 1
		.amdhsa_fp16_overflow 0
		.amdhsa_workgroup_processor_mode 1
		.amdhsa_memory_ordered 1
		.amdhsa_forward_progress 1
		.amdhsa_shared_vgpr_count 0
		.amdhsa_exception_fp_ieee_invalid_op 0
		.amdhsa_exception_fp_denorm_src 0
		.amdhsa_exception_fp_ieee_div_zero 0
		.amdhsa_exception_fp_ieee_overflow 0
		.amdhsa_exception_fp_ieee_underflow 0
		.amdhsa_exception_fp_ieee_inexact 0
		.amdhsa_exception_int_div_zero 0
	.end_amdhsa_kernel
	.section	.text._ZN9rocsparseL12gemvi_kernelILj1024ELj32EifEEvT1_S1_NS_24const_host_device_scalarIT2_EEPKS3_lS1_S6_PKS1_S4_PS3_21rocsparse_index_base_b,"axG",@progbits,_ZN9rocsparseL12gemvi_kernelILj1024ELj32EifEEvT1_S1_NS_24const_host_device_scalarIT2_EEPKS3_lS1_S6_PKS1_S4_PS3_21rocsparse_index_base_b,comdat
.Lfunc_end0:
	.size	_ZN9rocsparseL12gemvi_kernelILj1024ELj32EifEEvT1_S1_NS_24const_host_device_scalarIT2_EEPKS3_lS1_S6_PKS1_S4_PS3_21rocsparse_index_base_b, .Lfunc_end0-_ZN9rocsparseL12gemvi_kernelILj1024ELj32EifEEvT1_S1_NS_24const_host_device_scalarIT2_EEPKS3_lS1_S6_PKS1_S4_PS3_21rocsparse_index_base_b
                                        ; -- End function
	.set _ZN9rocsparseL12gemvi_kernelILj1024ELj32EifEEvT1_S1_NS_24const_host_device_scalarIT2_EEPKS3_lS1_S6_PKS1_S4_PS3_21rocsparse_index_base_b.num_vgpr, 15
	.set _ZN9rocsparseL12gemvi_kernelILj1024ELj32EifEEvT1_S1_NS_24const_host_device_scalarIT2_EEPKS3_lS1_S6_PKS1_S4_PS3_21rocsparse_index_base_b.num_agpr, 0
	.set _ZN9rocsparseL12gemvi_kernelILj1024ELj32EifEEvT1_S1_NS_24const_host_device_scalarIT2_EEPKS3_lS1_S6_PKS1_S4_PS3_21rocsparse_index_base_b.numbered_sgpr, 20
	.set _ZN9rocsparseL12gemvi_kernelILj1024ELj32EifEEvT1_S1_NS_24const_host_device_scalarIT2_EEPKS3_lS1_S6_PKS1_S4_PS3_21rocsparse_index_base_b.num_named_barrier, 0
	.set _ZN9rocsparseL12gemvi_kernelILj1024ELj32EifEEvT1_S1_NS_24const_host_device_scalarIT2_EEPKS3_lS1_S6_PKS1_S4_PS3_21rocsparse_index_base_b.private_seg_size, 0
	.set _ZN9rocsparseL12gemvi_kernelILj1024ELj32EifEEvT1_S1_NS_24const_host_device_scalarIT2_EEPKS3_lS1_S6_PKS1_S4_PS3_21rocsparse_index_base_b.uses_vcc, 1
	.set _ZN9rocsparseL12gemvi_kernelILj1024ELj32EifEEvT1_S1_NS_24const_host_device_scalarIT2_EEPKS3_lS1_S6_PKS1_S4_PS3_21rocsparse_index_base_b.uses_flat_scratch, 0
	.set _ZN9rocsparseL12gemvi_kernelILj1024ELj32EifEEvT1_S1_NS_24const_host_device_scalarIT2_EEPKS3_lS1_S6_PKS1_S4_PS3_21rocsparse_index_base_b.has_dyn_sized_stack, 0
	.set _ZN9rocsparseL12gemvi_kernelILj1024ELj32EifEEvT1_S1_NS_24const_host_device_scalarIT2_EEPKS3_lS1_S6_PKS1_S4_PS3_21rocsparse_index_base_b.has_recursion, 0
	.set _ZN9rocsparseL12gemvi_kernelILj1024ELj32EifEEvT1_S1_NS_24const_host_device_scalarIT2_EEPKS3_lS1_S6_PKS1_S4_PS3_21rocsparse_index_base_b.has_indirect_call, 0
	.section	.AMDGPU.csdata,"",@progbits
; Kernel info:
; codeLenInByte = 992
; TotalNumSgprs: 22
; NumVgprs: 15
; ScratchSize: 0
; MemoryBound: 0
; FloatMode: 240
; IeeeMode: 1
; LDSByteSize: 4096 bytes/workgroup (compile time only)
; SGPRBlocks: 0
; VGPRBlocks: 1
; NumSGPRsForWavesPerEU: 22
; NumVGPRsForWavesPerEU: 15
; Occupancy: 16
; WaveLimiterHint : 1
; COMPUTE_PGM_RSRC2:SCRATCH_EN: 0
; COMPUTE_PGM_RSRC2:USER_SGPR: 6
; COMPUTE_PGM_RSRC2:TRAP_HANDLER: 0
; COMPUTE_PGM_RSRC2:TGID_X_EN: 1
; COMPUTE_PGM_RSRC2:TGID_Y_EN: 0
; COMPUTE_PGM_RSRC2:TGID_Z_EN: 0
; COMPUTE_PGM_RSRC2:TIDIG_COMP_CNT: 0
	.section	.text._ZN9rocsparseL12gemvi_kernelILj1024ELj64EifEEvT1_S1_NS_24const_host_device_scalarIT2_EEPKS3_lS1_S6_PKS1_S4_PS3_21rocsparse_index_base_b,"axG",@progbits,_ZN9rocsparseL12gemvi_kernelILj1024ELj64EifEEvT1_S1_NS_24const_host_device_scalarIT2_EEPKS3_lS1_S6_PKS1_S4_PS3_21rocsparse_index_base_b,comdat
	.globl	_ZN9rocsparseL12gemvi_kernelILj1024ELj64EifEEvT1_S1_NS_24const_host_device_scalarIT2_EEPKS3_lS1_S6_PKS1_S4_PS3_21rocsparse_index_base_b ; -- Begin function _ZN9rocsparseL12gemvi_kernelILj1024ELj64EifEEvT1_S1_NS_24const_host_device_scalarIT2_EEPKS3_lS1_S6_PKS1_S4_PS3_21rocsparse_index_base_b
	.p2align	8
	.type	_ZN9rocsparseL12gemvi_kernelILj1024ELj64EifEEvT1_S1_NS_24const_host_device_scalarIT2_EEPKS3_lS1_S6_PKS1_S4_PS3_21rocsparse_index_base_b,@function
_ZN9rocsparseL12gemvi_kernelILj1024ELj64EifEEvT1_S1_NS_24const_host_device_scalarIT2_EEPKS3_lS1_S6_PKS1_S4_PS3_21rocsparse_index_base_b: ; @_ZN9rocsparseL12gemvi_kernelILj1024ELj64EifEEvT1_S1_NS_24const_host_device_scalarIT2_EEPKS3_lS1_S6_PKS1_S4_PS3_21rocsparse_index_base_b
; %bb.0:
	s_clause 0x2
	s_load_dwordx2 s[12:13], s[4:5], 0x48
	s_load_dwordx2 s[8:9], s[4:5], 0x8
	;; [unrolled: 1-line block ×3, first 2 shown]
	s_waitcnt lgkmcnt(0)
	s_bitcmp1_b32 s13, 0
	s_cselect_b32 s0, -1, 0
	s_and_b32 vcc_lo, exec_lo, s0
	s_xor_b32 s0, s0, -1
	s_cbranch_vccnz .LBB1_2
; %bb.1:
	s_load_dword s8, s[8:9], 0x0
.LBB1_2:
	s_andn2_b32 vcc_lo, exec_lo, s0
	s_cbranch_vccnz .LBB1_4
; %bb.3:
	s_load_dword s10, s[10:11], 0x0
.LBB1_4:
	s_waitcnt lgkmcnt(0)
	v_cmp_neq_f32_e64 s0, s8, 0
	v_cmp_neq_f32_e64 s1, s10, 1.0
	s_or_b32 s0, s0, s1
	s_andn2_b32 vcc_lo, exec_lo, s0
	s_cbranch_vccnz .LBB1_23
; %bb.5:
	s_load_dword s0, s[4:5], 0x0
	v_and_b32_e32 v6, 63, v0
	v_mov_b32_e32 v7, 0
	v_lshl_or_b32 v1, s6, 6, v6
	s_mov_b32 s6, exec_lo
	s_waitcnt lgkmcnt(0)
	v_cmp_le_i32_e32 vcc_lo, s0, v1
	v_cmpx_gt_i32_e64 s0, v1
	s_cbranch_execz .LBB1_11
; %bb.6:
	s_load_dword s9, s[4:5], 0x20
	v_lshrrev_b32_e32 v8, 6, v0
	v_mov_b32_e32 v7, 0
	s_mov_b32 s7, exec_lo
	s_waitcnt lgkmcnt(0)
	v_cmpx_gt_i32_e64 s9, v8
	s_cbranch_execz .LBB1_10
; %bb.7:
	s_clause 0x1
	s_load_dwordx4 s[0:3], s[4:5], 0x10
	s_load_dwordx4 s[16:19], s[4:5], 0x28
	v_ashrrev_i32_e32 v2, 31, v1
	v_lshrrev_b32_e32 v4, 4, v0
	v_mov_b32_e32 v7, 0
	s_mov_b32 s11, 0
	v_lshlrev_b64 v[2:3], 2, v[1:2]
	v_and_b32_e32 v4, 60, v4
	s_waitcnt lgkmcnt(0)
	v_add_co_u32 v9, s0, s0, v2
	v_add_co_ci_u32_e64 v10, null, s1, v3, s0
	v_add_co_u32 v2, s0, s16, v4
	v_add_co_ci_u32_e64 v3, null, s17, 0, s0
	;; [unrolled: 2-line block ×3, first 2 shown]
	s_inst_prefetch 0x1
	.p2align	6
.LBB1_8:                                ; =>This Inner Loop Header: Depth=1
	global_load_dword v11, v[4:5], off
	v_add_nc_u32_e32 v8, 16, v8
	v_cmp_le_i32_e64 s1, s9, v8
	s_or_b32 s11, s1, s11
	s_waitcnt vmcnt(0)
	v_subrev_nc_u32_e32 v11, s12, v11
	v_ashrrev_i32_e32 v13, 31, v11
	v_mul_lo_u32 v14, s3, v11
	v_mad_u64_u32 v[11:12], null, s2, v11, 0
	v_mul_lo_u32 v13, s2, v13
	v_add3_u32 v12, v12, v13, v14
	v_lshlrev_b64 v[11:12], 2, v[11:12]
	v_add_co_u32 v11, s0, v9, v11
	v_add_co_ci_u32_e64 v12, null, v10, v12, s0
	global_load_dword v13, v[2:3], off
	global_load_dword v11, v[11:12], off
	v_add_co_u32 v2, s0, v2, 64
	v_add_co_ci_u32_e64 v3, null, 0, v3, s0
	v_add_co_u32 v4, s0, v4, 64
	v_add_co_ci_u32_e64 v5, null, 0, v5, s0
	s_waitcnt vmcnt(0)
	v_fmac_f32_e32 v7, v13, v11
	s_andn2_b32 exec_lo, exec_lo, s11
	s_cbranch_execnz .LBB1_8
; %bb.9:
	s_inst_prefetch 0x2
	s_or_b32 exec_lo, exec_lo, s11
.LBB1_10:
	s_or_b32 exec_lo, exec_lo, s7
.LBB1_11:
	s_or_b32 exec_lo, exec_lo, s6
	v_lshlrev_b32_e32 v2, 2, v0
	s_mov_b32 s1, exec_lo
	ds_write_b32 v2, v7
	s_waitcnt lgkmcnt(0)
	s_barrier
	buffer_gl0_inv
	v_cmpx_gt_u32_e32 0x200, v0
	s_cbranch_execz .LBB1_13
; %bb.12:
	ds_read2st64_b32 v[3:4], v2 offset1:8
	s_waitcnt lgkmcnt(0)
	v_add_f32_e32 v3, v4, v3
	ds_write_b32 v2, v3
.LBB1_13:
	s_or_b32 exec_lo, exec_lo, s1
	s_mov_b32 s1, exec_lo
	s_waitcnt lgkmcnt(0)
	s_barrier
	buffer_gl0_inv
	v_cmpx_gt_u32_e32 0x100, v0
	s_cbranch_execz .LBB1_15
; %bb.14:
	ds_read2st64_b32 v[3:4], v2 offset1:4
	s_waitcnt lgkmcnt(0)
	v_add_f32_e32 v3, v4, v3
	ds_write_b32 v2, v3
.LBB1_15:
	s_or_b32 exec_lo, exec_lo, s1
	s_mov_b32 s1, exec_lo
	s_waitcnt lgkmcnt(0)
	s_barrier
	buffer_gl0_inv
	v_cmpx_gt_u32_e32 0x80, v0
	s_cbranch_execz .LBB1_17
; %bb.16:
	ds_read2st64_b32 v[3:4], v2 offset1:2
	s_waitcnt lgkmcnt(0)
	v_add_f32_e32 v3, v4, v3
	ds_write_b32 v2, v3
.LBB1_17:
	s_or_b32 exec_lo, exec_lo, s1
	v_cmp_lt_u32_e64 s0, 63, v0
	v_cmp_gt_u32_e64 s1, 64, v0
	v_lshlrev_b32_e32 v0, 2, v6
	s_waitcnt lgkmcnt(0)
	s_barrier
	buffer_gl0_inv
	s_and_saveexec_b32 s2, s1
	s_cbranch_execz .LBB1_19
; %bb.18:
	ds_read_b32 v3, v0 offset:256
	ds_read_b32 v4, v2
	s_waitcnt lgkmcnt(0)
	v_add_f32_e32 v3, v3, v4
	ds_write_b32 v2, v3
.LBB1_19:
	s_or_b32 exec_lo, exec_lo, s2
	s_nor_b32 s0, s0, vcc_lo
	s_and_saveexec_b32 s1, s0
	s_cbranch_execz .LBB1_23
; %bb.20:
	s_load_dwordx2 s[0:1], s[4:5], 0x40
	ds_read_b32 v0, v0
	v_cmp_eq_f32_e64 s2, s10, 0
	v_ashrrev_i32_e32 v2, 31, v1
	s_and_b32 vcc_lo, exec_lo, s2
	s_mov_b32 s2, 0
	s_cbranch_vccz .LBB1_24
; %bb.21:
	v_lshlrev_b64 v[3:4], 2, v[1:2]
	s_waitcnt lgkmcnt(0)
	v_mul_f32_e32 v5, s8, v0
	v_add_co_u32 v3, vcc_lo, s0, v3
	v_add_co_ci_u32_e64 v4, null, s1, v4, vcc_lo
	global_store_dword v[3:4], v5, off
	s_andn2_b32 vcc_lo, exec_lo, s2
	s_cbranch_vccnz .LBB1_23
.LBB1_22:
	v_lshlrev_b64 v[1:2], 2, v[1:2]
	s_waitcnt lgkmcnt(0)
	v_add_co_u32 v1, vcc_lo, s0, v1
	v_add_co_ci_u32_e64 v2, null, s1, v2, vcc_lo
	global_load_dword v3, v[1:2], off
	s_waitcnt vmcnt(0)
	v_mul_f32_e32 v3, s10, v3
	v_fmac_f32_e32 v3, s8, v0
	global_store_dword v[1:2], v3, off
.LBB1_23:
	s_endpgm
.LBB1_24:
	s_branch .LBB1_22
	.section	.rodata,"a",@progbits
	.p2align	6, 0x0
	.amdhsa_kernel _ZN9rocsparseL12gemvi_kernelILj1024ELj64EifEEvT1_S1_NS_24const_host_device_scalarIT2_EEPKS3_lS1_S6_PKS1_S4_PS3_21rocsparse_index_base_b
		.amdhsa_group_segment_fixed_size 4096
		.amdhsa_private_segment_fixed_size 0
		.amdhsa_kernarg_size 80
		.amdhsa_user_sgpr_count 6
		.amdhsa_user_sgpr_private_segment_buffer 1
		.amdhsa_user_sgpr_dispatch_ptr 0
		.amdhsa_user_sgpr_queue_ptr 0
		.amdhsa_user_sgpr_kernarg_segment_ptr 1
		.amdhsa_user_sgpr_dispatch_id 0
		.amdhsa_user_sgpr_flat_scratch_init 0
		.amdhsa_user_sgpr_private_segment_size 0
		.amdhsa_wavefront_size32 1
		.amdhsa_uses_dynamic_stack 0
		.amdhsa_system_sgpr_private_segment_wavefront_offset 0
		.amdhsa_system_sgpr_workgroup_id_x 1
		.amdhsa_system_sgpr_workgroup_id_y 0
		.amdhsa_system_sgpr_workgroup_id_z 0
		.amdhsa_system_sgpr_workgroup_info 0
		.amdhsa_system_vgpr_workitem_id 0
		.amdhsa_next_free_vgpr 15
		.amdhsa_next_free_sgpr 20
		.amdhsa_reserve_vcc 1
		.amdhsa_reserve_flat_scratch 0
		.amdhsa_float_round_mode_32 0
		.amdhsa_float_round_mode_16_64 0
		.amdhsa_float_denorm_mode_32 3
		.amdhsa_float_denorm_mode_16_64 3
		.amdhsa_dx10_clamp 1
		.amdhsa_ieee_mode 1
		.amdhsa_fp16_overflow 0
		.amdhsa_workgroup_processor_mode 1
		.amdhsa_memory_ordered 1
		.amdhsa_forward_progress 1
		.amdhsa_shared_vgpr_count 0
		.amdhsa_exception_fp_ieee_invalid_op 0
		.amdhsa_exception_fp_denorm_src 0
		.amdhsa_exception_fp_ieee_div_zero 0
		.amdhsa_exception_fp_ieee_overflow 0
		.amdhsa_exception_fp_ieee_underflow 0
		.amdhsa_exception_fp_ieee_inexact 0
		.amdhsa_exception_int_div_zero 0
	.end_amdhsa_kernel
	.section	.text._ZN9rocsparseL12gemvi_kernelILj1024ELj64EifEEvT1_S1_NS_24const_host_device_scalarIT2_EEPKS3_lS1_S6_PKS1_S4_PS3_21rocsparse_index_base_b,"axG",@progbits,_ZN9rocsparseL12gemvi_kernelILj1024ELj64EifEEvT1_S1_NS_24const_host_device_scalarIT2_EEPKS3_lS1_S6_PKS1_S4_PS3_21rocsparse_index_base_b,comdat
.Lfunc_end1:
	.size	_ZN9rocsparseL12gemvi_kernelILj1024ELj64EifEEvT1_S1_NS_24const_host_device_scalarIT2_EEPKS3_lS1_S6_PKS1_S4_PS3_21rocsparse_index_base_b, .Lfunc_end1-_ZN9rocsparseL12gemvi_kernelILj1024ELj64EifEEvT1_S1_NS_24const_host_device_scalarIT2_EEPKS3_lS1_S6_PKS1_S4_PS3_21rocsparse_index_base_b
                                        ; -- End function
	.set _ZN9rocsparseL12gemvi_kernelILj1024ELj64EifEEvT1_S1_NS_24const_host_device_scalarIT2_EEPKS3_lS1_S6_PKS1_S4_PS3_21rocsparse_index_base_b.num_vgpr, 15
	.set _ZN9rocsparseL12gemvi_kernelILj1024ELj64EifEEvT1_S1_NS_24const_host_device_scalarIT2_EEPKS3_lS1_S6_PKS1_S4_PS3_21rocsparse_index_base_b.num_agpr, 0
	.set _ZN9rocsparseL12gemvi_kernelILj1024ELj64EifEEvT1_S1_NS_24const_host_device_scalarIT2_EEPKS3_lS1_S6_PKS1_S4_PS3_21rocsparse_index_base_b.numbered_sgpr, 20
	.set _ZN9rocsparseL12gemvi_kernelILj1024ELj64EifEEvT1_S1_NS_24const_host_device_scalarIT2_EEPKS3_lS1_S6_PKS1_S4_PS3_21rocsparse_index_base_b.num_named_barrier, 0
	.set _ZN9rocsparseL12gemvi_kernelILj1024ELj64EifEEvT1_S1_NS_24const_host_device_scalarIT2_EEPKS3_lS1_S6_PKS1_S4_PS3_21rocsparse_index_base_b.private_seg_size, 0
	.set _ZN9rocsparseL12gemvi_kernelILj1024ELj64EifEEvT1_S1_NS_24const_host_device_scalarIT2_EEPKS3_lS1_S6_PKS1_S4_PS3_21rocsparse_index_base_b.uses_vcc, 1
	.set _ZN9rocsparseL12gemvi_kernelILj1024ELj64EifEEvT1_S1_NS_24const_host_device_scalarIT2_EEPKS3_lS1_S6_PKS1_S4_PS3_21rocsparse_index_base_b.uses_flat_scratch, 0
	.set _ZN9rocsparseL12gemvi_kernelILj1024ELj64EifEEvT1_S1_NS_24const_host_device_scalarIT2_EEPKS3_lS1_S6_PKS1_S4_PS3_21rocsparse_index_base_b.has_dyn_sized_stack, 0
	.set _ZN9rocsparseL12gemvi_kernelILj1024ELj64EifEEvT1_S1_NS_24const_host_device_scalarIT2_EEPKS3_lS1_S6_PKS1_S4_PS3_21rocsparse_index_base_b.has_recursion, 0
	.set _ZN9rocsparseL12gemvi_kernelILj1024ELj64EifEEvT1_S1_NS_24const_host_device_scalarIT2_EEPKS3_lS1_S6_PKS1_S4_PS3_21rocsparse_index_base_b.has_indirect_call, 0
	.section	.AMDGPU.csdata,"",@progbits
; Kernel info:
; codeLenInByte = 928
; TotalNumSgprs: 22
; NumVgprs: 15
; ScratchSize: 0
; MemoryBound: 0
; FloatMode: 240
; IeeeMode: 1
; LDSByteSize: 4096 bytes/workgroup (compile time only)
; SGPRBlocks: 0
; VGPRBlocks: 1
; NumSGPRsForWavesPerEU: 22
; NumVGPRsForWavesPerEU: 15
; Occupancy: 16
; WaveLimiterHint : 1
; COMPUTE_PGM_RSRC2:SCRATCH_EN: 0
; COMPUTE_PGM_RSRC2:USER_SGPR: 6
; COMPUTE_PGM_RSRC2:TRAP_HANDLER: 0
; COMPUTE_PGM_RSRC2:TGID_X_EN: 1
; COMPUTE_PGM_RSRC2:TGID_Y_EN: 0
; COMPUTE_PGM_RSRC2:TGID_Z_EN: 0
; COMPUTE_PGM_RSRC2:TIDIG_COMP_CNT: 0
	.section	.text._ZN9rocsparseL12gemvi_kernelILj1024ELj32EidEEvT1_S1_NS_24const_host_device_scalarIT2_EEPKS3_lS1_S6_PKS1_S4_PS3_21rocsparse_index_base_b,"axG",@progbits,_ZN9rocsparseL12gemvi_kernelILj1024ELj32EidEEvT1_S1_NS_24const_host_device_scalarIT2_EEPKS3_lS1_S6_PKS1_S4_PS3_21rocsparse_index_base_b,comdat
	.globl	_ZN9rocsparseL12gemvi_kernelILj1024ELj32EidEEvT1_S1_NS_24const_host_device_scalarIT2_EEPKS3_lS1_S6_PKS1_S4_PS3_21rocsparse_index_base_b ; -- Begin function _ZN9rocsparseL12gemvi_kernelILj1024ELj32EidEEvT1_S1_NS_24const_host_device_scalarIT2_EEPKS3_lS1_S6_PKS1_S4_PS3_21rocsparse_index_base_b
	.p2align	8
	.type	_ZN9rocsparseL12gemvi_kernelILj1024ELj32EidEEvT1_S1_NS_24const_host_device_scalarIT2_EEPKS3_lS1_S6_PKS1_S4_PS3_21rocsparse_index_base_b,@function
_ZN9rocsparseL12gemvi_kernelILj1024ELj32EidEEvT1_S1_NS_24const_host_device_scalarIT2_EEPKS3_lS1_S6_PKS1_S4_PS3_21rocsparse_index_base_b: ; @_ZN9rocsparseL12gemvi_kernelILj1024ELj32EidEEvT1_S1_NS_24const_host_device_scalarIT2_EEPKS3_lS1_S6_PKS1_S4_PS3_21rocsparse_index_base_b
; %bb.0:
	s_clause 0x2
	s_load_dwordx2 s[8:9], s[4:5], 0x48
	s_load_dwordx2 s[2:3], s[4:5], 0x8
	;; [unrolled: 1-line block ×3, first 2 shown]
	s_waitcnt lgkmcnt(0)
	s_bitcmp1_b32 s9, 0
	v_mov_b32_e32 v1, s2
	v_mov_b32_e32 v2, s3
	s_cselect_b32 s7, -1, 0
	s_and_b32 vcc_lo, exec_lo, s7
	s_xor_b32 s7, s7, -1
	s_cbranch_vccnz .LBB2_2
; %bb.1:
	v_mov_b32_e32 v1, s2
	v_mov_b32_e32 v2, s3
	flat_load_dwordx2 v[1:2], v[1:2]
.LBB2_2:
	v_mov_b32_e32 v4, s1
	v_mov_b32_e32 v3, s0
	s_andn2_b32 vcc_lo, exec_lo, s7
	s_cbranch_vccnz .LBB2_4
; %bb.3:
	v_mov_b32_e32 v4, s1
	v_mov_b32_e32 v3, s0
	flat_load_dwordx2 v[3:4], v[3:4]
.LBB2_4:
	s_waitcnt vmcnt(0) lgkmcnt(0)
	v_cmp_neq_f64_e32 vcc_lo, 0, v[1:2]
	v_cmp_neq_f64_e64 s0, 1.0, v[3:4]
	s_or_b32 s0, vcc_lo, s0
	s_and_saveexec_b32 s1, s0
	s_cbranch_execz .LBB2_26
; %bb.5:
	s_load_dword s0, s[4:5], 0x0
	v_and_b32_e32 v12, 31, v0
	v_mov_b32_e32 v6, 0
	v_mov_b32_e32 v7, 0
	v_lshl_or_b32 v5, s6, 5, v12
	s_mov_b32 s6, exec_lo
	s_waitcnt lgkmcnt(0)
	v_cmp_le_i32_e32 vcc_lo, s0, v5
	v_cmpx_gt_i32_e64 s0, v5
	s_cbranch_execz .LBB2_11
; %bb.6:
	s_load_dword s7, s[4:5], 0x20
	v_mov_b32_e32 v6, 0
	v_lshrrev_b32_e32 v13, 5, v0
	v_mov_b32_e32 v7, 0
	s_mov_b32 s9, exec_lo
	s_waitcnt lgkmcnt(0)
	v_cmpx_gt_i32_e64 s7, v13
	s_cbranch_execz .LBB2_10
; %bb.7:
	s_clause 0x1
	s_load_dwordx4 s[0:3], s[4:5], 0x10
	s_load_dwordx4 s[12:15], s[4:5], 0x28
	v_ashrrev_i32_e32 v6, 31, v5
	v_lshrrev_b32_e32 v10, 5, v0
	s_mov_b32 s10, 0
	v_lshlrev_b64 v[8:9], 3, v[5:6]
	v_lshlrev_b32_e32 v11, 3, v10
	v_lshlrev_b32_e32 v10, 2, v10
	v_mov_b32_e32 v6, 0
	v_mov_b32_e32 v7, 0
	s_waitcnt lgkmcnt(0)
	v_add_co_u32 v14, s0, s0, v8
	v_add_co_ci_u32_e64 v15, null, s1, v9, s0
	v_add_co_u32 v8, s0, s12, v11
	v_add_co_ci_u32_e64 v9, null, s13, 0, s0
	;; [unrolled: 2-line block ×3, first 2 shown]
	s_inst_prefetch 0x1
	.p2align	6
.LBB2_8:                                ; =>This Inner Loop Header: Depth=1
	global_load_dword v16, v[10:11], off
	v_add_nc_u32_e32 v13, 32, v13
	v_add_co_u32 v10, s1, 0x80, v10
	v_add_co_ci_u32_e64 v11, null, 0, v11, s1
	s_waitcnt vmcnt(0)
	v_subrev_nc_u32_e32 v16, s8, v16
	v_ashrrev_i32_e32 v18, 31, v16
	v_mul_lo_u32 v19, s3, v16
	v_mad_u64_u32 v[16:17], null, s2, v16, 0
	v_mul_lo_u32 v18, s2, v18
	v_add3_u32 v17, v17, v18, v19
	v_lshlrev_b64 v[16:17], 3, v[16:17]
	v_add_co_u32 v16, s0, v14, v16
	v_add_co_ci_u32_e64 v17, null, v15, v17, s0
	global_load_dwordx2 v[18:19], v[8:9], off
	global_load_dwordx2 v[16:17], v[16:17], off
	v_add_co_u32 v8, s0, 0x100, v8
	v_add_co_ci_u32_e64 v9, null, 0, v9, s0
	v_cmp_le_i32_e64 s0, s7, v13
	s_or_b32 s10, s0, s10
	s_waitcnt vmcnt(0)
	v_fma_f64 v[6:7], v[18:19], v[16:17], v[6:7]
	s_andn2_b32 exec_lo, exec_lo, s10
	s_cbranch_execnz .LBB2_8
; %bb.9:
	s_inst_prefetch 0x2
	s_or_b32 exec_lo, exec_lo, s10
.LBB2_10:
	s_or_b32 exec_lo, exec_lo, s9
.LBB2_11:
	s_or_b32 exec_lo, exec_lo, s6
	v_lshlrev_b32_e32 v8, 3, v0
	s_mov_b32 s1, exec_lo
	ds_write_b64 v8, v[6:7]
	s_waitcnt lgkmcnt(0)
	s_barrier
	buffer_gl0_inv
	v_cmpx_gt_u32_e32 0x200, v0
	s_cbranch_execz .LBB2_13
; %bb.12:
	ds_read2st64_b64 v[13:16], v8 offset1:8
	s_waitcnt lgkmcnt(0)
	v_add_f64 v[6:7], v[15:16], v[13:14]
	ds_write_b64 v8, v[6:7]
.LBB2_13:
	s_or_b32 exec_lo, exec_lo, s1
	s_mov_b32 s1, exec_lo
	s_waitcnt lgkmcnt(0)
	s_barrier
	buffer_gl0_inv
	v_cmpx_gt_u32_e32 0x100, v0
	s_cbranch_execz .LBB2_15
; %bb.14:
	ds_read2st64_b64 v[13:16], v8 offset1:4
	s_waitcnt lgkmcnt(0)
	v_add_f64 v[6:7], v[15:16], v[13:14]
	ds_write_b64 v8, v[6:7]
.LBB2_15:
	s_or_b32 exec_lo, exec_lo, s1
	s_mov_b32 s1, exec_lo
	;; [unrolled: 13-line block ×3, first 2 shown]
	s_waitcnt lgkmcnt(0)
	s_barrier
	buffer_gl0_inv
	v_cmpx_gt_u32_e32 64, v0
	s_cbranch_execz .LBB2_19
; %bb.18:
	ds_read2st64_b64 v[13:16], v8 offset1:1
	s_waitcnt lgkmcnt(0)
	v_add_f64 v[6:7], v[15:16], v[13:14]
	ds_write_b64 v8, v[6:7]
.LBB2_19:
	s_or_b32 exec_lo, exec_lo, s1
	v_cmp_lt_u32_e64 s0, 31, v0
	v_cmp_gt_u32_e64 s1, 32, v0
	v_lshlrev_b32_e32 v0, 3, v12
	s_waitcnt lgkmcnt(0)
	s_barrier
	buffer_gl0_inv
	s_and_saveexec_b32 s2, s1
	s_cbranch_execz .LBB2_21
; %bb.20:
	ds_read_b64 v[6:7], v0 offset:256
	ds_read_b64 v[9:10], v8
	s_waitcnt lgkmcnt(0)
	v_add_f64 v[6:7], v[6:7], v[9:10]
	ds_write_b64 v8, v[6:7]
.LBB2_21:
	s_or_b32 exec_lo, exec_lo, s2
	s_nor_b32 s0, s0, vcc_lo
	s_and_b32 exec_lo, exec_lo, s0
	s_cbranch_execz .LBB2_26
; %bb.22:
	s_load_dwordx2 s[0:1], s[4:5], 0x40
	ds_read_b64 v[7:8], v0
	v_ashrrev_i32_e32 v6, 31, v5
	s_mov_b32 s2, exec_lo
	v_cmpx_eq_f64_e32 0, v[3:4]
	s_xor_b32 s2, exec_lo, s2
	s_cbranch_execz .LBB2_24
; %bb.23:
	s_waitcnt lgkmcnt(0)
	v_mul_f64 v[0:1], v[1:2], v[7:8]
	v_lshlrev_b64 v[2:3], 3, v[5:6]
                                        ; implicit-def: $vgpr5
                                        ; implicit-def: $vgpr7_vgpr8
	v_add_co_u32 v2, vcc_lo, s0, v2
	v_add_co_ci_u32_e64 v3, null, s1, v3, vcc_lo
	global_store_dwordx2 v[2:3], v[0:1], off
                                        ; implicit-def: $vgpr3_vgpr4
                                        ; implicit-def: $vgpr1_vgpr2
.LBB2_24:
	s_andn2_saveexec_b32 s2, s2
	s_cbranch_execz .LBB2_26
; %bb.25:
	v_lshlrev_b64 v[5:6], 3, v[5:6]
	s_waitcnt lgkmcnt(0)
	v_add_co_u32 v5, vcc_lo, s0, v5
	v_add_co_ci_u32_e64 v6, null, s1, v6, vcc_lo
	global_load_dwordx2 v[9:10], v[5:6], off
	s_waitcnt vmcnt(0)
	v_mul_f64 v[3:4], v[3:4], v[9:10]
	v_fma_f64 v[0:1], v[1:2], v[7:8], v[3:4]
	global_store_dwordx2 v[5:6], v[0:1], off
.LBB2_26:
	s_endpgm
	.section	.rodata,"a",@progbits
	.p2align	6, 0x0
	.amdhsa_kernel _ZN9rocsparseL12gemvi_kernelILj1024ELj32EidEEvT1_S1_NS_24const_host_device_scalarIT2_EEPKS3_lS1_S6_PKS1_S4_PS3_21rocsparse_index_base_b
		.amdhsa_group_segment_fixed_size 8192
		.amdhsa_private_segment_fixed_size 0
		.amdhsa_kernarg_size 80
		.amdhsa_user_sgpr_count 6
		.amdhsa_user_sgpr_private_segment_buffer 1
		.amdhsa_user_sgpr_dispatch_ptr 0
		.amdhsa_user_sgpr_queue_ptr 0
		.amdhsa_user_sgpr_kernarg_segment_ptr 1
		.amdhsa_user_sgpr_dispatch_id 0
		.amdhsa_user_sgpr_flat_scratch_init 0
		.amdhsa_user_sgpr_private_segment_size 0
		.amdhsa_wavefront_size32 1
		.amdhsa_uses_dynamic_stack 0
		.amdhsa_system_sgpr_private_segment_wavefront_offset 0
		.amdhsa_system_sgpr_workgroup_id_x 1
		.amdhsa_system_sgpr_workgroup_id_y 0
		.amdhsa_system_sgpr_workgroup_id_z 0
		.amdhsa_system_sgpr_workgroup_info 0
		.amdhsa_system_vgpr_workitem_id 0
		.amdhsa_next_free_vgpr 20
		.amdhsa_next_free_sgpr 16
		.amdhsa_reserve_vcc 1
		.amdhsa_reserve_flat_scratch 0
		.amdhsa_float_round_mode_32 0
		.amdhsa_float_round_mode_16_64 0
		.amdhsa_float_denorm_mode_32 3
		.amdhsa_float_denorm_mode_16_64 3
		.amdhsa_dx10_clamp 1
		.amdhsa_ieee_mode 1
		.amdhsa_fp16_overflow 0
		.amdhsa_workgroup_processor_mode 1
		.amdhsa_memory_ordered 1
		.amdhsa_forward_progress 1
		.amdhsa_shared_vgpr_count 0
		.amdhsa_exception_fp_ieee_invalid_op 0
		.amdhsa_exception_fp_denorm_src 0
		.amdhsa_exception_fp_ieee_div_zero 0
		.amdhsa_exception_fp_ieee_overflow 0
		.amdhsa_exception_fp_ieee_underflow 0
		.amdhsa_exception_fp_ieee_inexact 0
		.amdhsa_exception_int_div_zero 0
	.end_amdhsa_kernel
	.section	.text._ZN9rocsparseL12gemvi_kernelILj1024ELj32EidEEvT1_S1_NS_24const_host_device_scalarIT2_EEPKS3_lS1_S6_PKS1_S4_PS3_21rocsparse_index_base_b,"axG",@progbits,_ZN9rocsparseL12gemvi_kernelILj1024ELj32EidEEvT1_S1_NS_24const_host_device_scalarIT2_EEPKS3_lS1_S6_PKS1_S4_PS3_21rocsparse_index_base_b,comdat
.Lfunc_end2:
	.size	_ZN9rocsparseL12gemvi_kernelILj1024ELj32EidEEvT1_S1_NS_24const_host_device_scalarIT2_EEPKS3_lS1_S6_PKS1_S4_PS3_21rocsparse_index_base_b, .Lfunc_end2-_ZN9rocsparseL12gemvi_kernelILj1024ELj32EidEEvT1_S1_NS_24const_host_device_scalarIT2_EEPKS3_lS1_S6_PKS1_S4_PS3_21rocsparse_index_base_b
                                        ; -- End function
	.set _ZN9rocsparseL12gemvi_kernelILj1024ELj32EidEEvT1_S1_NS_24const_host_device_scalarIT2_EEPKS3_lS1_S6_PKS1_S4_PS3_21rocsparse_index_base_b.num_vgpr, 20
	.set _ZN9rocsparseL12gemvi_kernelILj1024ELj32EidEEvT1_S1_NS_24const_host_device_scalarIT2_EEPKS3_lS1_S6_PKS1_S4_PS3_21rocsparse_index_base_b.num_agpr, 0
	.set _ZN9rocsparseL12gemvi_kernelILj1024ELj32EidEEvT1_S1_NS_24const_host_device_scalarIT2_EEPKS3_lS1_S6_PKS1_S4_PS3_21rocsparse_index_base_b.numbered_sgpr, 16
	.set _ZN9rocsparseL12gemvi_kernelILj1024ELj32EidEEvT1_S1_NS_24const_host_device_scalarIT2_EEPKS3_lS1_S6_PKS1_S4_PS3_21rocsparse_index_base_b.num_named_barrier, 0
	.set _ZN9rocsparseL12gemvi_kernelILj1024ELj32EidEEvT1_S1_NS_24const_host_device_scalarIT2_EEPKS3_lS1_S6_PKS1_S4_PS3_21rocsparse_index_base_b.private_seg_size, 0
	.set _ZN9rocsparseL12gemvi_kernelILj1024ELj32EidEEvT1_S1_NS_24const_host_device_scalarIT2_EEPKS3_lS1_S6_PKS1_S4_PS3_21rocsparse_index_base_b.uses_vcc, 1
	.set _ZN9rocsparseL12gemvi_kernelILj1024ELj32EidEEvT1_S1_NS_24const_host_device_scalarIT2_EEPKS3_lS1_S6_PKS1_S4_PS3_21rocsparse_index_base_b.uses_flat_scratch, 0
	.set _ZN9rocsparseL12gemvi_kernelILj1024ELj32EidEEvT1_S1_NS_24const_host_device_scalarIT2_EEPKS3_lS1_S6_PKS1_S4_PS3_21rocsparse_index_base_b.has_dyn_sized_stack, 0
	.set _ZN9rocsparseL12gemvi_kernelILj1024ELj32EidEEvT1_S1_NS_24const_host_device_scalarIT2_EEPKS3_lS1_S6_PKS1_S4_PS3_21rocsparse_index_base_b.has_recursion, 0
	.set _ZN9rocsparseL12gemvi_kernelILj1024ELj32EidEEvT1_S1_NS_24const_host_device_scalarIT2_EEPKS3_lS1_S6_PKS1_S4_PS3_21rocsparse_index_base_b.has_indirect_call, 0
	.section	.AMDGPU.csdata,"",@progbits
; Kernel info:
; codeLenInByte = 1084
; TotalNumSgprs: 18
; NumVgprs: 20
; ScratchSize: 0
; MemoryBound: 0
; FloatMode: 240
; IeeeMode: 1
; LDSByteSize: 8192 bytes/workgroup (compile time only)
; SGPRBlocks: 0
; VGPRBlocks: 2
; NumSGPRsForWavesPerEU: 18
; NumVGPRsForWavesPerEU: 20
; Occupancy: 16
; WaveLimiterHint : 1
; COMPUTE_PGM_RSRC2:SCRATCH_EN: 0
; COMPUTE_PGM_RSRC2:USER_SGPR: 6
; COMPUTE_PGM_RSRC2:TRAP_HANDLER: 0
; COMPUTE_PGM_RSRC2:TGID_X_EN: 1
; COMPUTE_PGM_RSRC2:TGID_Y_EN: 0
; COMPUTE_PGM_RSRC2:TGID_Z_EN: 0
; COMPUTE_PGM_RSRC2:TIDIG_COMP_CNT: 0
	.section	.text._ZN9rocsparseL12gemvi_kernelILj1024ELj64EidEEvT1_S1_NS_24const_host_device_scalarIT2_EEPKS3_lS1_S6_PKS1_S4_PS3_21rocsparse_index_base_b,"axG",@progbits,_ZN9rocsparseL12gemvi_kernelILj1024ELj64EidEEvT1_S1_NS_24const_host_device_scalarIT2_EEPKS3_lS1_S6_PKS1_S4_PS3_21rocsparse_index_base_b,comdat
	.globl	_ZN9rocsparseL12gemvi_kernelILj1024ELj64EidEEvT1_S1_NS_24const_host_device_scalarIT2_EEPKS3_lS1_S6_PKS1_S4_PS3_21rocsparse_index_base_b ; -- Begin function _ZN9rocsparseL12gemvi_kernelILj1024ELj64EidEEvT1_S1_NS_24const_host_device_scalarIT2_EEPKS3_lS1_S6_PKS1_S4_PS3_21rocsparse_index_base_b
	.p2align	8
	.type	_ZN9rocsparseL12gemvi_kernelILj1024ELj64EidEEvT1_S1_NS_24const_host_device_scalarIT2_EEPKS3_lS1_S6_PKS1_S4_PS3_21rocsparse_index_base_b,@function
_ZN9rocsparseL12gemvi_kernelILj1024ELj64EidEEvT1_S1_NS_24const_host_device_scalarIT2_EEPKS3_lS1_S6_PKS1_S4_PS3_21rocsparse_index_base_b: ; @_ZN9rocsparseL12gemvi_kernelILj1024ELj64EidEEvT1_S1_NS_24const_host_device_scalarIT2_EEPKS3_lS1_S6_PKS1_S4_PS3_21rocsparse_index_base_b
; %bb.0:
	s_clause 0x2
	s_load_dwordx2 s[8:9], s[4:5], 0x48
	s_load_dwordx2 s[2:3], s[4:5], 0x8
	;; [unrolled: 1-line block ×3, first 2 shown]
	s_waitcnt lgkmcnt(0)
	s_bitcmp1_b32 s9, 0
	v_mov_b32_e32 v1, s2
	v_mov_b32_e32 v2, s3
	s_cselect_b32 s7, -1, 0
	s_and_b32 vcc_lo, exec_lo, s7
	s_xor_b32 s7, s7, -1
	s_cbranch_vccnz .LBB3_2
; %bb.1:
	v_mov_b32_e32 v1, s2
	v_mov_b32_e32 v2, s3
	flat_load_dwordx2 v[1:2], v[1:2]
.LBB3_2:
	v_mov_b32_e32 v4, s1
	v_mov_b32_e32 v3, s0
	s_andn2_b32 vcc_lo, exec_lo, s7
	s_cbranch_vccnz .LBB3_4
; %bb.3:
	v_mov_b32_e32 v4, s1
	v_mov_b32_e32 v3, s0
	flat_load_dwordx2 v[3:4], v[3:4]
.LBB3_4:
	s_waitcnt vmcnt(0) lgkmcnt(0)
	v_cmp_neq_f64_e32 vcc_lo, 0, v[1:2]
	v_cmp_neq_f64_e64 s0, 1.0, v[3:4]
	s_or_b32 s0, vcc_lo, s0
	s_and_saveexec_b32 s1, s0
	s_cbranch_execz .LBB3_24
; %bb.5:
	s_load_dword s0, s[4:5], 0x0
	v_and_b32_e32 v12, 63, v0
	v_mov_b32_e32 v6, 0
	v_mov_b32_e32 v7, 0
	v_lshl_or_b32 v5, s6, 6, v12
	s_mov_b32 s6, exec_lo
	s_waitcnt lgkmcnt(0)
	v_cmp_le_i32_e32 vcc_lo, s0, v5
	v_cmpx_gt_i32_e64 s0, v5
	s_cbranch_execz .LBB3_11
; %bb.6:
	s_load_dword s7, s[4:5], 0x20
	v_mov_b32_e32 v6, 0
	v_lshrrev_b32_e32 v13, 6, v0
	v_mov_b32_e32 v7, 0
	s_mov_b32 s9, exec_lo
	s_waitcnt lgkmcnt(0)
	v_cmpx_gt_i32_e64 s7, v13
	s_cbranch_execz .LBB3_10
; %bb.7:
	s_clause 0x1
	s_load_dwordx4 s[0:3], s[4:5], 0x10
	s_load_dwordx4 s[12:15], s[4:5], 0x28
	v_ashrrev_i32_e32 v6, 31, v5
	v_lshrrev_b32_e32 v10, 6, v0
	s_mov_b32 s10, 0
	v_lshlrev_b64 v[8:9], 3, v[5:6]
	v_lshlrev_b32_e32 v11, 3, v10
	v_lshlrev_b32_e32 v10, 2, v10
	v_mov_b32_e32 v6, 0
	v_mov_b32_e32 v7, 0
	s_waitcnt lgkmcnt(0)
	v_add_co_u32 v14, s0, s0, v8
	v_add_co_ci_u32_e64 v15, null, s1, v9, s0
	v_add_co_u32 v8, s0, s12, v11
	v_add_co_ci_u32_e64 v9, null, s13, 0, s0
	v_add_co_u32 v10, s0, s14, v10
	v_add_co_ci_u32_e64 v11, null, s15, 0, s0
	s_inst_prefetch 0x1
	.p2align	6
.LBB3_8:                                ; =>This Inner Loop Header: Depth=1
	global_load_dword v16, v[10:11], off
	v_add_nc_u32_e32 v13, 16, v13
	v_add_co_u32 v10, s1, v10, 64
	v_add_co_ci_u32_e64 v11, null, 0, v11, s1
	s_waitcnt vmcnt(0)
	v_subrev_nc_u32_e32 v16, s8, v16
	v_ashrrev_i32_e32 v18, 31, v16
	v_mul_lo_u32 v19, s3, v16
	v_mad_u64_u32 v[16:17], null, s2, v16, 0
	v_mul_lo_u32 v18, s2, v18
	v_add3_u32 v17, v17, v18, v19
	v_lshlrev_b64 v[16:17], 3, v[16:17]
	v_add_co_u32 v16, s0, v14, v16
	v_add_co_ci_u32_e64 v17, null, v15, v17, s0
	global_load_dwordx2 v[18:19], v[8:9], off
	global_load_dwordx2 v[16:17], v[16:17], off
	v_add_co_u32 v8, s0, 0x80, v8
	v_add_co_ci_u32_e64 v9, null, 0, v9, s0
	v_cmp_le_i32_e64 s0, s7, v13
	s_or_b32 s10, s0, s10
	s_waitcnt vmcnt(0)
	v_fma_f64 v[6:7], v[18:19], v[16:17], v[6:7]
	s_andn2_b32 exec_lo, exec_lo, s10
	s_cbranch_execnz .LBB3_8
; %bb.9:
	s_inst_prefetch 0x2
	s_or_b32 exec_lo, exec_lo, s10
.LBB3_10:
	s_or_b32 exec_lo, exec_lo, s9
.LBB3_11:
	s_or_b32 exec_lo, exec_lo, s6
	v_lshlrev_b32_e32 v8, 3, v0
	s_mov_b32 s1, exec_lo
	ds_write_b64 v8, v[6:7]
	s_waitcnt lgkmcnt(0)
	s_barrier
	buffer_gl0_inv
	v_cmpx_gt_u32_e32 0x200, v0
	s_cbranch_execz .LBB3_13
; %bb.12:
	ds_read2st64_b64 v[13:16], v8 offset1:8
	s_waitcnt lgkmcnt(0)
	v_add_f64 v[6:7], v[15:16], v[13:14]
	ds_write_b64 v8, v[6:7]
.LBB3_13:
	s_or_b32 exec_lo, exec_lo, s1
	s_mov_b32 s1, exec_lo
	s_waitcnt lgkmcnt(0)
	s_barrier
	buffer_gl0_inv
	v_cmpx_gt_u32_e32 0x100, v0
	s_cbranch_execz .LBB3_15
; %bb.14:
	ds_read2st64_b64 v[13:16], v8 offset1:4
	s_waitcnt lgkmcnt(0)
	v_add_f64 v[6:7], v[15:16], v[13:14]
	ds_write_b64 v8, v[6:7]
.LBB3_15:
	s_or_b32 exec_lo, exec_lo, s1
	s_mov_b32 s1, exec_lo
	s_waitcnt lgkmcnt(0)
	s_barrier
	buffer_gl0_inv
	v_cmpx_gt_u32_e32 0x80, v0
	s_cbranch_execz .LBB3_17
; %bb.16:
	ds_read2st64_b64 v[13:16], v8 offset1:2
	s_waitcnt lgkmcnt(0)
	v_add_f64 v[6:7], v[15:16], v[13:14]
	ds_write_b64 v8, v[6:7]
.LBB3_17:
	s_or_b32 exec_lo, exec_lo, s1
	v_cmp_lt_u32_e64 s0, 63, v0
	v_cmp_gt_u32_e64 s1, 64, v0
	v_lshlrev_b32_e32 v0, 3, v12
	s_waitcnt lgkmcnt(0)
	s_barrier
	buffer_gl0_inv
	s_and_saveexec_b32 s2, s1
	s_cbranch_execz .LBB3_19
; %bb.18:
	ds_read_b64 v[6:7], v0 offset:512
	ds_read_b64 v[9:10], v8
	s_waitcnt lgkmcnt(0)
	v_add_f64 v[6:7], v[6:7], v[9:10]
	ds_write_b64 v8, v[6:7]
.LBB3_19:
	s_or_b32 exec_lo, exec_lo, s2
	s_nor_b32 s0, s0, vcc_lo
	s_and_b32 exec_lo, exec_lo, s0
	s_cbranch_execz .LBB3_24
; %bb.20:
	s_load_dwordx2 s[0:1], s[4:5], 0x40
	ds_read_b64 v[7:8], v0
	v_ashrrev_i32_e32 v6, 31, v5
	s_mov_b32 s2, exec_lo
	v_cmpx_eq_f64_e32 0, v[3:4]
	s_xor_b32 s2, exec_lo, s2
	s_cbranch_execz .LBB3_22
; %bb.21:
	s_waitcnt lgkmcnt(0)
	v_mul_f64 v[0:1], v[1:2], v[7:8]
	v_lshlrev_b64 v[2:3], 3, v[5:6]
                                        ; implicit-def: $vgpr5
                                        ; implicit-def: $vgpr7_vgpr8
	v_add_co_u32 v2, vcc_lo, s0, v2
	v_add_co_ci_u32_e64 v3, null, s1, v3, vcc_lo
	global_store_dwordx2 v[2:3], v[0:1], off
                                        ; implicit-def: $vgpr3_vgpr4
                                        ; implicit-def: $vgpr1_vgpr2
.LBB3_22:
	s_andn2_saveexec_b32 s2, s2
	s_cbranch_execz .LBB3_24
; %bb.23:
	v_lshlrev_b64 v[5:6], 3, v[5:6]
	s_waitcnt lgkmcnt(0)
	v_add_co_u32 v5, vcc_lo, s0, v5
	v_add_co_ci_u32_e64 v6, null, s1, v6, vcc_lo
	global_load_dwordx2 v[9:10], v[5:6], off
	s_waitcnt vmcnt(0)
	v_mul_f64 v[3:4], v[3:4], v[9:10]
	v_fma_f64 v[0:1], v[1:2], v[7:8], v[3:4]
	global_store_dwordx2 v[5:6], v[0:1], off
.LBB3_24:
	s_endpgm
	.section	.rodata,"a",@progbits
	.p2align	6, 0x0
	.amdhsa_kernel _ZN9rocsparseL12gemvi_kernelILj1024ELj64EidEEvT1_S1_NS_24const_host_device_scalarIT2_EEPKS3_lS1_S6_PKS1_S4_PS3_21rocsparse_index_base_b
		.amdhsa_group_segment_fixed_size 8192
		.amdhsa_private_segment_fixed_size 0
		.amdhsa_kernarg_size 80
		.amdhsa_user_sgpr_count 6
		.amdhsa_user_sgpr_private_segment_buffer 1
		.amdhsa_user_sgpr_dispatch_ptr 0
		.amdhsa_user_sgpr_queue_ptr 0
		.amdhsa_user_sgpr_kernarg_segment_ptr 1
		.amdhsa_user_sgpr_dispatch_id 0
		.amdhsa_user_sgpr_flat_scratch_init 0
		.amdhsa_user_sgpr_private_segment_size 0
		.amdhsa_wavefront_size32 1
		.amdhsa_uses_dynamic_stack 0
		.amdhsa_system_sgpr_private_segment_wavefront_offset 0
		.amdhsa_system_sgpr_workgroup_id_x 1
		.amdhsa_system_sgpr_workgroup_id_y 0
		.amdhsa_system_sgpr_workgroup_id_z 0
		.amdhsa_system_sgpr_workgroup_info 0
		.amdhsa_system_vgpr_workitem_id 0
		.amdhsa_next_free_vgpr 20
		.amdhsa_next_free_sgpr 16
		.amdhsa_reserve_vcc 1
		.amdhsa_reserve_flat_scratch 0
		.amdhsa_float_round_mode_32 0
		.amdhsa_float_round_mode_16_64 0
		.amdhsa_float_denorm_mode_32 3
		.amdhsa_float_denorm_mode_16_64 3
		.amdhsa_dx10_clamp 1
		.amdhsa_ieee_mode 1
		.amdhsa_fp16_overflow 0
		.amdhsa_workgroup_processor_mode 1
		.amdhsa_memory_ordered 1
		.amdhsa_forward_progress 1
		.amdhsa_shared_vgpr_count 0
		.amdhsa_exception_fp_ieee_invalid_op 0
		.amdhsa_exception_fp_denorm_src 0
		.amdhsa_exception_fp_ieee_div_zero 0
		.amdhsa_exception_fp_ieee_overflow 0
		.amdhsa_exception_fp_ieee_underflow 0
		.amdhsa_exception_fp_ieee_inexact 0
		.amdhsa_exception_int_div_zero 0
	.end_amdhsa_kernel
	.section	.text._ZN9rocsparseL12gemvi_kernelILj1024ELj64EidEEvT1_S1_NS_24const_host_device_scalarIT2_EEPKS3_lS1_S6_PKS1_S4_PS3_21rocsparse_index_base_b,"axG",@progbits,_ZN9rocsparseL12gemvi_kernelILj1024ELj64EidEEvT1_S1_NS_24const_host_device_scalarIT2_EEPKS3_lS1_S6_PKS1_S4_PS3_21rocsparse_index_base_b,comdat
.Lfunc_end3:
	.size	_ZN9rocsparseL12gemvi_kernelILj1024ELj64EidEEvT1_S1_NS_24const_host_device_scalarIT2_EEPKS3_lS1_S6_PKS1_S4_PS3_21rocsparse_index_base_b, .Lfunc_end3-_ZN9rocsparseL12gemvi_kernelILj1024ELj64EidEEvT1_S1_NS_24const_host_device_scalarIT2_EEPKS3_lS1_S6_PKS1_S4_PS3_21rocsparse_index_base_b
                                        ; -- End function
	.set _ZN9rocsparseL12gemvi_kernelILj1024ELj64EidEEvT1_S1_NS_24const_host_device_scalarIT2_EEPKS3_lS1_S6_PKS1_S4_PS3_21rocsparse_index_base_b.num_vgpr, 20
	.set _ZN9rocsparseL12gemvi_kernelILj1024ELj64EidEEvT1_S1_NS_24const_host_device_scalarIT2_EEPKS3_lS1_S6_PKS1_S4_PS3_21rocsparse_index_base_b.num_agpr, 0
	.set _ZN9rocsparseL12gemvi_kernelILj1024ELj64EidEEvT1_S1_NS_24const_host_device_scalarIT2_EEPKS3_lS1_S6_PKS1_S4_PS3_21rocsparse_index_base_b.numbered_sgpr, 16
	.set _ZN9rocsparseL12gemvi_kernelILj1024ELj64EidEEvT1_S1_NS_24const_host_device_scalarIT2_EEPKS3_lS1_S6_PKS1_S4_PS3_21rocsparse_index_base_b.num_named_barrier, 0
	.set _ZN9rocsparseL12gemvi_kernelILj1024ELj64EidEEvT1_S1_NS_24const_host_device_scalarIT2_EEPKS3_lS1_S6_PKS1_S4_PS3_21rocsparse_index_base_b.private_seg_size, 0
	.set _ZN9rocsparseL12gemvi_kernelILj1024ELj64EidEEvT1_S1_NS_24const_host_device_scalarIT2_EEPKS3_lS1_S6_PKS1_S4_PS3_21rocsparse_index_base_b.uses_vcc, 1
	.set _ZN9rocsparseL12gemvi_kernelILj1024ELj64EidEEvT1_S1_NS_24const_host_device_scalarIT2_EEPKS3_lS1_S6_PKS1_S4_PS3_21rocsparse_index_base_b.uses_flat_scratch, 0
	.set _ZN9rocsparseL12gemvi_kernelILj1024ELj64EidEEvT1_S1_NS_24const_host_device_scalarIT2_EEPKS3_lS1_S6_PKS1_S4_PS3_21rocsparse_index_base_b.has_dyn_sized_stack, 0
	.set _ZN9rocsparseL12gemvi_kernelILj1024ELj64EidEEvT1_S1_NS_24const_host_device_scalarIT2_EEPKS3_lS1_S6_PKS1_S4_PS3_21rocsparse_index_base_b.has_recursion, 0
	.set _ZN9rocsparseL12gemvi_kernelILj1024ELj64EidEEvT1_S1_NS_24const_host_device_scalarIT2_EEPKS3_lS1_S6_PKS1_S4_PS3_21rocsparse_index_base_b.has_indirect_call, 0
	.section	.AMDGPU.csdata,"",@progbits
; Kernel info:
; codeLenInByte = 1020
; TotalNumSgprs: 18
; NumVgprs: 20
; ScratchSize: 0
; MemoryBound: 0
; FloatMode: 240
; IeeeMode: 1
; LDSByteSize: 8192 bytes/workgroup (compile time only)
; SGPRBlocks: 0
; VGPRBlocks: 2
; NumSGPRsForWavesPerEU: 18
; NumVGPRsForWavesPerEU: 20
; Occupancy: 16
; WaveLimiterHint : 1
; COMPUTE_PGM_RSRC2:SCRATCH_EN: 0
; COMPUTE_PGM_RSRC2:USER_SGPR: 6
; COMPUTE_PGM_RSRC2:TRAP_HANDLER: 0
; COMPUTE_PGM_RSRC2:TGID_X_EN: 1
; COMPUTE_PGM_RSRC2:TGID_Y_EN: 0
; COMPUTE_PGM_RSRC2:TGID_Z_EN: 0
; COMPUTE_PGM_RSRC2:TIDIG_COMP_CNT: 0
	.section	.text._ZN9rocsparseL12gemvi_kernelILj1024ELj32Ei21rocsparse_complex_numIfEEEvT1_S3_NS_24const_host_device_scalarIT2_EEPKS5_lS3_S8_PKS3_S6_PS5_21rocsparse_index_base_b,"axG",@progbits,_ZN9rocsparseL12gemvi_kernelILj1024ELj32Ei21rocsparse_complex_numIfEEEvT1_S3_NS_24const_host_device_scalarIT2_EEPKS5_lS3_S8_PKS3_S6_PS5_21rocsparse_index_base_b,comdat
	.globl	_ZN9rocsparseL12gemvi_kernelILj1024ELj32Ei21rocsparse_complex_numIfEEEvT1_S3_NS_24const_host_device_scalarIT2_EEPKS5_lS3_S8_PKS3_S6_PS5_21rocsparse_index_base_b ; -- Begin function _ZN9rocsparseL12gemvi_kernelILj1024ELj32Ei21rocsparse_complex_numIfEEEvT1_S3_NS_24const_host_device_scalarIT2_EEPKS5_lS3_S8_PKS3_S6_PS5_21rocsparse_index_base_b
	.p2align	8
	.type	_ZN9rocsparseL12gemvi_kernelILj1024ELj32Ei21rocsparse_complex_numIfEEEvT1_S3_NS_24const_host_device_scalarIT2_EEPKS5_lS3_S8_PKS3_S6_PS5_21rocsparse_index_base_b,@function
_ZN9rocsparseL12gemvi_kernelILj1024ELj32Ei21rocsparse_complex_numIfEEEvT1_S3_NS_24const_host_device_scalarIT2_EEPKS5_lS3_S8_PKS3_S6_PS5_21rocsparse_index_base_b: ; @_ZN9rocsparseL12gemvi_kernelILj1024ELj32Ei21rocsparse_complex_numIfEEEvT1_S3_NS_24const_host_device_scalarIT2_EEPKS5_lS3_S8_PKS3_S6_PS5_21rocsparse_index_base_b
; %bb.0:
	s_clause 0x2
	s_load_dwordx2 s[8:9], s[4:5], 0x48
	s_load_dwordx2 s[0:1], s[4:5], 0x8
	s_load_dwordx2 s[2:3], s[4:5], 0x38
	s_add_u32 s7, s4, 8
	s_addc_u32 s10, s5, 0
	s_add_u32 s11, s4, 56
	s_addc_u32 s12, s5, 0
	s_waitcnt lgkmcnt(0)
	s_bitcmp1_b32 s9, 0
	s_cselect_b32 s0, s7, s0
	s_cselect_b32 s1, s10, s1
	v_mov_b32_e32 v1, s0
	v_mov_b32_e32 v2, s1
	s_cselect_b32 s0, s11, s2
	s_cselect_b32 s1, s12, s3
	v_mov_b32_e32 v3, s0
	v_mov_b32_e32 v4, s1
	flat_load_dwordx2 v[1:2], v[1:2]
	flat_load_dwordx2 v[3:4], v[3:4]
	s_waitcnt vmcnt(1) lgkmcnt(1)
	v_cmp_eq_f32_e32 vcc_lo, 0, v1
	v_cmp_eq_f32_e64 s0, 0, v2
	s_and_b32 s2, vcc_lo, s0
	s_mov_b32 s0, -1
	s_and_saveexec_b32 s1, s2
	s_cbranch_execz .LBB4_2
; %bb.1:
	s_waitcnt vmcnt(0) lgkmcnt(0)
	v_cmp_neq_f32_e32 vcc_lo, 1.0, v3
	v_cmp_neq_f32_e64 s0, 0, v4
	s_or_b32 s0, vcc_lo, s0
	s_orn2_b32 s0, s0, exec_lo
.LBB4_2:
	s_or_b32 exec_lo, exec_lo, s1
	s_and_saveexec_b32 s1, s0
	s_cbranch_execz .LBB4_24
; %bb.3:
	s_load_dword s0, s[4:5], 0x0
	v_and_b32_e32 v12, 31, v0
	v_mov_b32_e32 v6, 0
	v_lshl_or_b32 v5, s6, 5, v12
	v_mov_b32_e32 v7, v6
	s_mov_b32 s6, exec_lo
	s_waitcnt lgkmcnt(0)
	v_cmp_le_i32_e32 vcc_lo, s0, v5
	v_cmpx_gt_i32_e64 s0, v5
	s_cbranch_execz .LBB4_9
; %bb.4:
	s_load_dword s7, s[4:5], 0x20
	v_lshrrev_b32_e32 v13, 5, v0
	v_mov_b32_e32 v7, 0
	v_mov_b32_e32 v6, 0
	s_mov_b32 s9, exec_lo
	s_waitcnt lgkmcnt(0)
	v_cmpx_gt_i32_e64 s7, v13
	s_cbranch_execz .LBB4_8
; %bb.5:
	s_clause 0x1
	s_load_dwordx4 s[0:3], s[4:5], 0x10
	s_load_dwordx4 s[12:15], s[4:5], 0x28
	v_ashrrev_i32_e32 v6, 31, v5
	v_lshrrev_b32_e32 v10, 5, v0
	v_mov_b32_e32 v7, 0
	s_mov_b32 s10, 0
	v_lshlrev_b64 v[8:9], 3, v[5:6]
	v_lshlrev_b32_e32 v6, 3, v10
	v_lshlrev_b32_e32 v10, 2, v10
	s_waitcnt lgkmcnt(0)
	v_add_co_u32 v14, s0, s0, v8
	v_add_co_ci_u32_e64 v15, null, s1, v9, s0
	v_add_co_u32 v6, s0, s12, v6
	v_add_co_ci_u32_e64 v11, null, s13, 0, s0
	;; [unrolled: 2-line block ×4, first 2 shown]
	v_mov_b32_e32 v6, v7
	s_inst_prefetch 0x1
	.p2align	6
.LBB4_6:                                ; =>This Inner Loop Header: Depth=1
	global_load_dword v16, v[8:9], off
	v_add_nc_u32_e32 v13, 32, v13
	v_cmp_le_i32_e64 s1, s7, v13
	s_or_b32 s10, s1, s10
	s_waitcnt vmcnt(0)
	v_subrev_nc_u32_e32 v16, s8, v16
	v_ashrrev_i32_e32 v18, 31, v16
	v_mul_lo_u32 v19, s3, v16
	v_mad_u64_u32 v[16:17], null, s2, v16, 0
	v_mul_lo_u32 v18, s2, v18
	v_add3_u32 v17, v17, v18, v19
	v_lshlrev_b64 v[16:17], 3, v[16:17]
	v_add_co_u32 v16, s0, v14, v16
	v_add_co_ci_u32_e64 v17, null, v15, v17, s0
	global_load_dwordx2 v[18:19], v[10:11], off offset:-4
	global_load_dwordx2 v[16:17], v[16:17], off
	v_add_co_u32 v10, s0, 0x100, v10
	v_add_co_ci_u32_e64 v11, null, 0, v11, s0
	v_add_co_u32 v8, s0, 0x80, v8
	v_add_co_ci_u32_e64 v9, null, 0, v9, s0
	s_waitcnt vmcnt(0)
	v_fmac_f32_e32 v6, v18, v16
	v_fmac_f32_e32 v7, v19, v16
	v_fma_f32 v6, -v19, v17, v6
	v_fmac_f32_e32 v7, v18, v17
	s_andn2_b32 exec_lo, exec_lo, s10
	s_cbranch_execnz .LBB4_6
; %bb.7:
	s_inst_prefetch 0x2
	s_or_b32 exec_lo, exec_lo, s10
.LBB4_8:
	s_or_b32 exec_lo, exec_lo, s9
.LBB4_9:
	s_or_b32 exec_lo, exec_lo, s6
	v_lshlrev_b32_e32 v8, 3, v0
	s_mov_b32 s1, exec_lo
	ds_write_b64 v8, v[6:7]
	s_waitcnt vmcnt(0) lgkmcnt(0)
	s_barrier
	buffer_gl0_inv
	v_cmpx_gt_u32_e32 0x200, v0
	s_cbranch_execz .LBB4_11
; %bb.10:
	ds_read2st64_b64 v[13:16], v8 offset1:8
	s_waitcnt lgkmcnt(0)
	v_add_f32_e32 v6, v15, v13
	v_add_f32_e32 v7, v16, v14
	ds_write_b64 v8, v[6:7]
.LBB4_11:
	s_or_b32 exec_lo, exec_lo, s1
	s_mov_b32 s1, exec_lo
	s_waitcnt lgkmcnt(0)
	s_barrier
	buffer_gl0_inv
	v_cmpx_gt_u32_e32 0x100, v0
	s_cbranch_execz .LBB4_13
; %bb.12:
	ds_read2st64_b64 v[13:16], v8 offset1:4
	s_waitcnt lgkmcnt(0)
	v_add_f32_e32 v6, v15, v13
	v_add_f32_e32 v7, v16, v14
	ds_write_b64 v8, v[6:7]
.LBB4_13:
	s_or_b32 exec_lo, exec_lo, s1
	s_mov_b32 s1, exec_lo
	s_waitcnt lgkmcnt(0)
	s_barrier
	buffer_gl0_inv
	v_cmpx_gt_u32_e32 0x80, v0
	s_cbranch_execz .LBB4_15
; %bb.14:
	ds_read2st64_b64 v[13:16], v8 offset1:2
	s_waitcnt lgkmcnt(0)
	v_add_f32_e32 v6, v15, v13
	v_add_f32_e32 v7, v16, v14
	ds_write_b64 v8, v[6:7]
.LBB4_15:
	s_or_b32 exec_lo, exec_lo, s1
	s_mov_b32 s1, exec_lo
	s_waitcnt lgkmcnt(0)
	s_barrier
	buffer_gl0_inv
	v_cmpx_gt_u32_e32 64, v0
	s_cbranch_execz .LBB4_17
; %bb.16:
	ds_read2st64_b64 v[13:16], v8 offset1:1
	s_waitcnt lgkmcnt(0)
	v_add_f32_e32 v6, v15, v13
	v_add_f32_e32 v7, v16, v14
	ds_write_b64 v8, v[6:7]
.LBB4_17:
	s_or_b32 exec_lo, exec_lo, s1
	v_cmp_lt_u32_e64 s0, 31, v0
	v_cmp_gt_u32_e64 s1, 32, v0
	v_lshlrev_b32_e32 v0, 3, v12
	s_waitcnt lgkmcnt(0)
	s_barrier
	buffer_gl0_inv
	s_and_saveexec_b32 s2, s1
	s_cbranch_execz .LBB4_19
; %bb.18:
	ds_read_b64 v[6:7], v0 offset:256
	ds_read_b64 v[9:10], v8
	s_waitcnt lgkmcnt(0)
	v_add_f32_e32 v6, v6, v9
	v_add_f32_e32 v7, v7, v10
	ds_write_b64 v8, v[6:7]
.LBB4_19:
	s_or_b32 exec_lo, exec_lo, s2
	s_nor_b32 s0, s0, vcc_lo
	s_and_b32 exec_lo, exec_lo, s0
	s_cbranch_execz .LBB4_24
; %bb.20:
	s_load_dwordx2 s[0:1], s[4:5], 0x40
	ds_read_b64 v[7:8], v0
	v_or_b32_e32 v0, v3, v4
	v_ashrrev_i32_e32 v6, 31, v5
	s_mov_b32 s2, exec_lo
	v_and_b32_e32 v0, 0x7fffffff, v0
	v_cmpx_eq_u32_e32 0, v0
	s_xor_b32 s2, exec_lo, s2
	s_cbranch_execz .LBB4_22
; %bb.21:
	v_lshlrev_b64 v[5:6], 3, v[5:6]
	s_waitcnt lgkmcnt(0)
	v_mul_f32_e64 v3, v8, -v2
	v_mul_f32_e32 v4, v1, v8
	v_fmac_f32_e32 v3, v1, v7
	v_add_co_u32 v0, vcc_lo, s0, v5
	v_fmac_f32_e32 v4, v2, v7
	v_add_co_ci_u32_e64 v1, null, s1, v6, vcc_lo
                                        ; implicit-def: $vgpr5
                                        ; implicit-def: $vgpr7_vgpr8
	global_store_dwordx2 v[0:1], v[3:4], off
                                        ; implicit-def: $vgpr3_vgpr4
                                        ; implicit-def: $vgpr1_vgpr2
.LBB4_22:
	s_andn2_saveexec_b32 s2, s2
	s_cbranch_execz .LBB4_24
; %bb.23:
	v_lshlrev_b64 v[5:6], 3, v[5:6]
	s_waitcnt lgkmcnt(0)
	v_add_co_u32 v5, vcc_lo, s0, v5
	v_add_co_ci_u32_e64 v6, null, s1, v6, vcc_lo
	global_load_dwordx2 v[9:10], v[5:6], off
	s_waitcnt vmcnt(0)
	v_mul_f32_e64 v0, v10, -v4
	v_mul_f32_e32 v10, v10, v3
	v_fmac_f32_e32 v0, v3, v9
	v_fmac_f32_e32 v10, v4, v9
	;; [unrolled: 1-line block ×4, first 2 shown]
	v_fma_f32 v9, -v2, v8, v0
	v_fmac_f32_e32 v10, v1, v8
	global_store_dwordx2 v[5:6], v[9:10], off
.LBB4_24:
	s_endpgm
	.section	.rodata,"a",@progbits
	.p2align	6, 0x0
	.amdhsa_kernel _ZN9rocsparseL12gemvi_kernelILj1024ELj32Ei21rocsparse_complex_numIfEEEvT1_S3_NS_24const_host_device_scalarIT2_EEPKS5_lS3_S8_PKS3_S6_PS5_21rocsparse_index_base_b
		.amdhsa_group_segment_fixed_size 8192
		.amdhsa_private_segment_fixed_size 0
		.amdhsa_kernarg_size 80
		.amdhsa_user_sgpr_count 6
		.amdhsa_user_sgpr_private_segment_buffer 1
		.amdhsa_user_sgpr_dispatch_ptr 0
		.amdhsa_user_sgpr_queue_ptr 0
		.amdhsa_user_sgpr_kernarg_segment_ptr 1
		.amdhsa_user_sgpr_dispatch_id 0
		.amdhsa_user_sgpr_flat_scratch_init 0
		.amdhsa_user_sgpr_private_segment_size 0
		.amdhsa_wavefront_size32 1
		.amdhsa_uses_dynamic_stack 0
		.amdhsa_system_sgpr_private_segment_wavefront_offset 0
		.amdhsa_system_sgpr_workgroup_id_x 1
		.amdhsa_system_sgpr_workgroup_id_y 0
		.amdhsa_system_sgpr_workgroup_id_z 0
		.amdhsa_system_sgpr_workgroup_info 0
		.amdhsa_system_vgpr_workitem_id 0
		.amdhsa_next_free_vgpr 20
		.amdhsa_next_free_sgpr 16
		.amdhsa_reserve_vcc 1
		.amdhsa_reserve_flat_scratch 0
		.amdhsa_float_round_mode_32 0
		.amdhsa_float_round_mode_16_64 0
		.amdhsa_float_denorm_mode_32 3
		.amdhsa_float_denorm_mode_16_64 3
		.amdhsa_dx10_clamp 1
		.amdhsa_ieee_mode 1
		.amdhsa_fp16_overflow 0
		.amdhsa_workgroup_processor_mode 1
		.amdhsa_memory_ordered 1
		.amdhsa_forward_progress 1
		.amdhsa_shared_vgpr_count 0
		.amdhsa_exception_fp_ieee_invalid_op 0
		.amdhsa_exception_fp_denorm_src 0
		.amdhsa_exception_fp_ieee_div_zero 0
		.amdhsa_exception_fp_ieee_overflow 0
		.amdhsa_exception_fp_ieee_underflow 0
		.amdhsa_exception_fp_ieee_inexact 0
		.amdhsa_exception_int_div_zero 0
	.end_amdhsa_kernel
	.section	.text._ZN9rocsparseL12gemvi_kernelILj1024ELj32Ei21rocsparse_complex_numIfEEEvT1_S3_NS_24const_host_device_scalarIT2_EEPKS5_lS3_S8_PKS3_S6_PS5_21rocsparse_index_base_b,"axG",@progbits,_ZN9rocsparseL12gemvi_kernelILj1024ELj32Ei21rocsparse_complex_numIfEEEvT1_S3_NS_24const_host_device_scalarIT2_EEPKS5_lS3_S8_PKS3_S6_PS5_21rocsparse_index_base_b,comdat
.Lfunc_end4:
	.size	_ZN9rocsparseL12gemvi_kernelILj1024ELj32Ei21rocsparse_complex_numIfEEEvT1_S3_NS_24const_host_device_scalarIT2_EEPKS5_lS3_S8_PKS3_S6_PS5_21rocsparse_index_base_b, .Lfunc_end4-_ZN9rocsparseL12gemvi_kernelILj1024ELj32Ei21rocsparse_complex_numIfEEEvT1_S3_NS_24const_host_device_scalarIT2_EEPKS5_lS3_S8_PKS3_S6_PS5_21rocsparse_index_base_b
                                        ; -- End function
	.set _ZN9rocsparseL12gemvi_kernelILj1024ELj32Ei21rocsparse_complex_numIfEEEvT1_S3_NS_24const_host_device_scalarIT2_EEPKS5_lS3_S8_PKS3_S6_PS5_21rocsparse_index_base_b.num_vgpr, 20
	.set _ZN9rocsparseL12gemvi_kernelILj1024ELj32Ei21rocsparse_complex_numIfEEEvT1_S3_NS_24const_host_device_scalarIT2_EEPKS5_lS3_S8_PKS3_S6_PS5_21rocsparse_index_base_b.num_agpr, 0
	.set _ZN9rocsparseL12gemvi_kernelILj1024ELj32Ei21rocsparse_complex_numIfEEEvT1_S3_NS_24const_host_device_scalarIT2_EEPKS5_lS3_S8_PKS3_S6_PS5_21rocsparse_index_base_b.numbered_sgpr, 16
	.set _ZN9rocsparseL12gemvi_kernelILj1024ELj32Ei21rocsparse_complex_numIfEEEvT1_S3_NS_24const_host_device_scalarIT2_EEPKS5_lS3_S8_PKS3_S6_PS5_21rocsparse_index_base_b.num_named_barrier, 0
	.set _ZN9rocsparseL12gemvi_kernelILj1024ELj32Ei21rocsparse_complex_numIfEEEvT1_S3_NS_24const_host_device_scalarIT2_EEPKS5_lS3_S8_PKS3_S6_PS5_21rocsparse_index_base_b.private_seg_size, 0
	.set _ZN9rocsparseL12gemvi_kernelILj1024ELj32Ei21rocsparse_complex_numIfEEEvT1_S3_NS_24const_host_device_scalarIT2_EEPKS5_lS3_S8_PKS3_S6_PS5_21rocsparse_index_base_b.uses_vcc, 1
	.set _ZN9rocsparseL12gemvi_kernelILj1024ELj32Ei21rocsparse_complex_numIfEEEvT1_S3_NS_24const_host_device_scalarIT2_EEPKS5_lS3_S8_PKS3_S6_PS5_21rocsparse_index_base_b.uses_flat_scratch, 0
	.set _ZN9rocsparseL12gemvi_kernelILj1024ELj32Ei21rocsparse_complex_numIfEEEvT1_S3_NS_24const_host_device_scalarIT2_EEPKS5_lS3_S8_PKS3_S6_PS5_21rocsparse_index_base_b.has_dyn_sized_stack, 0
	.set _ZN9rocsparseL12gemvi_kernelILj1024ELj32Ei21rocsparse_complex_numIfEEEvT1_S3_NS_24const_host_device_scalarIT2_EEPKS5_lS3_S8_PKS3_S6_PS5_21rocsparse_index_base_b.has_recursion, 0
	.set _ZN9rocsparseL12gemvi_kernelILj1024ELj32Ei21rocsparse_complex_numIfEEEvT1_S3_NS_24const_host_device_scalarIT2_EEPKS5_lS3_S8_PKS3_S6_PS5_21rocsparse_index_base_b.has_indirect_call, 0
	.section	.AMDGPU.csdata,"",@progbits
; Kernel info:
; codeLenInByte = 1208
; TotalNumSgprs: 18
; NumVgprs: 20
; ScratchSize: 0
; MemoryBound: 0
; FloatMode: 240
; IeeeMode: 1
; LDSByteSize: 8192 bytes/workgroup (compile time only)
; SGPRBlocks: 0
; VGPRBlocks: 2
; NumSGPRsForWavesPerEU: 18
; NumVGPRsForWavesPerEU: 20
; Occupancy: 16
; WaveLimiterHint : 1
; COMPUTE_PGM_RSRC2:SCRATCH_EN: 0
; COMPUTE_PGM_RSRC2:USER_SGPR: 6
; COMPUTE_PGM_RSRC2:TRAP_HANDLER: 0
; COMPUTE_PGM_RSRC2:TGID_X_EN: 1
; COMPUTE_PGM_RSRC2:TGID_Y_EN: 0
; COMPUTE_PGM_RSRC2:TGID_Z_EN: 0
; COMPUTE_PGM_RSRC2:TIDIG_COMP_CNT: 0
	.section	.text._ZN9rocsparseL12gemvi_kernelILj1024ELj64Ei21rocsparse_complex_numIfEEEvT1_S3_NS_24const_host_device_scalarIT2_EEPKS5_lS3_S8_PKS3_S6_PS5_21rocsparse_index_base_b,"axG",@progbits,_ZN9rocsparseL12gemvi_kernelILj1024ELj64Ei21rocsparse_complex_numIfEEEvT1_S3_NS_24const_host_device_scalarIT2_EEPKS5_lS3_S8_PKS3_S6_PS5_21rocsparse_index_base_b,comdat
	.globl	_ZN9rocsparseL12gemvi_kernelILj1024ELj64Ei21rocsparse_complex_numIfEEEvT1_S3_NS_24const_host_device_scalarIT2_EEPKS5_lS3_S8_PKS3_S6_PS5_21rocsparse_index_base_b ; -- Begin function _ZN9rocsparseL12gemvi_kernelILj1024ELj64Ei21rocsparse_complex_numIfEEEvT1_S3_NS_24const_host_device_scalarIT2_EEPKS5_lS3_S8_PKS3_S6_PS5_21rocsparse_index_base_b
	.p2align	8
	.type	_ZN9rocsparseL12gemvi_kernelILj1024ELj64Ei21rocsparse_complex_numIfEEEvT1_S3_NS_24const_host_device_scalarIT2_EEPKS5_lS3_S8_PKS3_S6_PS5_21rocsparse_index_base_b,@function
_ZN9rocsparseL12gemvi_kernelILj1024ELj64Ei21rocsparse_complex_numIfEEEvT1_S3_NS_24const_host_device_scalarIT2_EEPKS5_lS3_S8_PKS3_S6_PS5_21rocsparse_index_base_b: ; @_ZN9rocsparseL12gemvi_kernelILj1024ELj64Ei21rocsparse_complex_numIfEEEvT1_S3_NS_24const_host_device_scalarIT2_EEPKS5_lS3_S8_PKS3_S6_PS5_21rocsparse_index_base_b
; %bb.0:
	s_clause 0x2
	s_load_dwordx2 s[8:9], s[4:5], 0x48
	s_load_dwordx2 s[0:1], s[4:5], 0x8
	;; [unrolled: 1-line block ×3, first 2 shown]
	s_add_u32 s7, s4, 8
	s_addc_u32 s10, s5, 0
	s_add_u32 s11, s4, 56
	s_addc_u32 s12, s5, 0
	s_waitcnt lgkmcnt(0)
	s_bitcmp1_b32 s9, 0
	s_cselect_b32 s0, s7, s0
	s_cselect_b32 s1, s10, s1
	v_mov_b32_e32 v1, s0
	v_mov_b32_e32 v2, s1
	s_cselect_b32 s0, s11, s2
	s_cselect_b32 s1, s12, s3
	v_mov_b32_e32 v3, s0
	v_mov_b32_e32 v4, s1
	flat_load_dwordx2 v[1:2], v[1:2]
	flat_load_dwordx2 v[3:4], v[3:4]
	s_waitcnt vmcnt(1) lgkmcnt(1)
	v_cmp_eq_f32_e32 vcc_lo, 0, v1
	v_cmp_eq_f32_e64 s0, 0, v2
	s_and_b32 s2, vcc_lo, s0
	s_mov_b32 s0, -1
	s_and_saveexec_b32 s1, s2
	s_cbranch_execz .LBB5_2
; %bb.1:
	s_waitcnt vmcnt(0) lgkmcnt(0)
	v_cmp_neq_f32_e32 vcc_lo, 1.0, v3
	v_cmp_neq_f32_e64 s0, 0, v4
	s_or_b32 s0, vcc_lo, s0
	s_orn2_b32 s0, s0, exec_lo
.LBB5_2:
	s_or_b32 exec_lo, exec_lo, s1
	s_and_saveexec_b32 s1, s0
	s_cbranch_execz .LBB5_22
; %bb.3:
	s_load_dword s0, s[4:5], 0x0
	v_and_b32_e32 v12, 63, v0
	v_mov_b32_e32 v6, 0
	v_lshl_or_b32 v5, s6, 6, v12
	v_mov_b32_e32 v7, v6
	s_mov_b32 s6, exec_lo
	s_waitcnt lgkmcnt(0)
	v_cmp_le_i32_e32 vcc_lo, s0, v5
	v_cmpx_gt_i32_e64 s0, v5
	s_cbranch_execz .LBB5_9
; %bb.4:
	s_load_dword s7, s[4:5], 0x20
	v_lshrrev_b32_e32 v13, 6, v0
	v_mov_b32_e32 v7, 0
	v_mov_b32_e32 v6, 0
	s_mov_b32 s9, exec_lo
	s_waitcnt lgkmcnt(0)
	v_cmpx_gt_i32_e64 s7, v13
	s_cbranch_execz .LBB5_8
; %bb.5:
	s_clause 0x1
	s_load_dwordx4 s[0:3], s[4:5], 0x10
	s_load_dwordx4 s[12:15], s[4:5], 0x28
	v_ashrrev_i32_e32 v6, 31, v5
	v_lshrrev_b32_e32 v10, 6, v0
	v_mov_b32_e32 v7, 0
	s_mov_b32 s10, 0
	v_lshlrev_b64 v[8:9], 3, v[5:6]
	v_lshlrev_b32_e32 v6, 3, v10
	v_lshlrev_b32_e32 v10, 2, v10
	s_waitcnt lgkmcnt(0)
	v_add_co_u32 v14, s0, s0, v8
	v_add_co_ci_u32_e64 v15, null, s1, v9, s0
	v_add_co_u32 v6, s0, s12, v6
	v_add_co_ci_u32_e64 v11, null, s13, 0, s0
	;; [unrolled: 2-line block ×4, first 2 shown]
	v_mov_b32_e32 v6, v7
	s_inst_prefetch 0x1
	.p2align	6
.LBB5_6:                                ; =>This Inner Loop Header: Depth=1
	global_load_dword v16, v[8:9], off
	v_add_nc_u32_e32 v13, 16, v13
	v_cmp_le_i32_e64 s1, s7, v13
	s_or_b32 s10, s1, s10
	s_waitcnt vmcnt(0)
	v_subrev_nc_u32_e32 v16, s8, v16
	v_ashrrev_i32_e32 v18, 31, v16
	v_mul_lo_u32 v19, s3, v16
	v_mad_u64_u32 v[16:17], null, s2, v16, 0
	v_mul_lo_u32 v18, s2, v18
	v_add3_u32 v17, v17, v18, v19
	v_lshlrev_b64 v[16:17], 3, v[16:17]
	v_add_co_u32 v16, s0, v14, v16
	v_add_co_ci_u32_e64 v17, null, v15, v17, s0
	global_load_dwordx2 v[18:19], v[10:11], off offset:-4
	global_load_dwordx2 v[16:17], v[16:17], off
	v_add_co_u32 v10, s0, 0x80, v10
	v_add_co_ci_u32_e64 v11, null, 0, v11, s0
	v_add_co_u32 v8, s0, v8, 64
	v_add_co_ci_u32_e64 v9, null, 0, v9, s0
	s_waitcnt vmcnt(0)
	v_fmac_f32_e32 v6, v18, v16
	v_fmac_f32_e32 v7, v19, v16
	v_fma_f32 v6, -v19, v17, v6
	v_fmac_f32_e32 v7, v18, v17
	s_andn2_b32 exec_lo, exec_lo, s10
	s_cbranch_execnz .LBB5_6
; %bb.7:
	s_inst_prefetch 0x2
	s_or_b32 exec_lo, exec_lo, s10
.LBB5_8:
	s_or_b32 exec_lo, exec_lo, s9
.LBB5_9:
	s_or_b32 exec_lo, exec_lo, s6
	v_lshlrev_b32_e32 v8, 3, v0
	s_mov_b32 s1, exec_lo
	ds_write_b64 v8, v[6:7]
	s_waitcnt vmcnt(0) lgkmcnt(0)
	s_barrier
	buffer_gl0_inv
	v_cmpx_gt_u32_e32 0x200, v0
	s_cbranch_execz .LBB5_11
; %bb.10:
	ds_read2st64_b64 v[13:16], v8 offset1:8
	s_waitcnt lgkmcnt(0)
	v_add_f32_e32 v6, v15, v13
	v_add_f32_e32 v7, v16, v14
	ds_write_b64 v8, v[6:7]
.LBB5_11:
	s_or_b32 exec_lo, exec_lo, s1
	s_mov_b32 s1, exec_lo
	s_waitcnt lgkmcnt(0)
	s_barrier
	buffer_gl0_inv
	v_cmpx_gt_u32_e32 0x100, v0
	s_cbranch_execz .LBB5_13
; %bb.12:
	ds_read2st64_b64 v[13:16], v8 offset1:4
	s_waitcnt lgkmcnt(0)
	v_add_f32_e32 v6, v15, v13
	v_add_f32_e32 v7, v16, v14
	ds_write_b64 v8, v[6:7]
.LBB5_13:
	s_or_b32 exec_lo, exec_lo, s1
	s_mov_b32 s1, exec_lo
	s_waitcnt lgkmcnt(0)
	s_barrier
	buffer_gl0_inv
	v_cmpx_gt_u32_e32 0x80, v0
	s_cbranch_execz .LBB5_15
; %bb.14:
	ds_read2st64_b64 v[13:16], v8 offset1:2
	s_waitcnt lgkmcnt(0)
	v_add_f32_e32 v6, v15, v13
	v_add_f32_e32 v7, v16, v14
	ds_write_b64 v8, v[6:7]
.LBB5_15:
	s_or_b32 exec_lo, exec_lo, s1
	v_cmp_lt_u32_e64 s0, 63, v0
	v_cmp_gt_u32_e64 s1, 64, v0
	v_lshlrev_b32_e32 v0, 3, v12
	s_waitcnt lgkmcnt(0)
	s_barrier
	buffer_gl0_inv
	s_and_saveexec_b32 s2, s1
	s_cbranch_execz .LBB5_17
; %bb.16:
	ds_read_b64 v[6:7], v0 offset:512
	ds_read_b64 v[9:10], v8
	s_waitcnt lgkmcnt(0)
	v_add_f32_e32 v6, v6, v9
	v_add_f32_e32 v7, v7, v10
	ds_write_b64 v8, v[6:7]
.LBB5_17:
	s_or_b32 exec_lo, exec_lo, s2
	s_nor_b32 s0, s0, vcc_lo
	s_and_b32 exec_lo, exec_lo, s0
	s_cbranch_execz .LBB5_22
; %bb.18:
	s_load_dwordx2 s[0:1], s[4:5], 0x40
	ds_read_b64 v[7:8], v0
	v_or_b32_e32 v0, v3, v4
	v_ashrrev_i32_e32 v6, 31, v5
	s_mov_b32 s2, exec_lo
	v_and_b32_e32 v0, 0x7fffffff, v0
	v_cmpx_eq_u32_e32 0, v0
	s_xor_b32 s2, exec_lo, s2
	s_cbranch_execz .LBB5_20
; %bb.19:
	v_lshlrev_b64 v[5:6], 3, v[5:6]
	s_waitcnt lgkmcnt(0)
	v_mul_f32_e64 v3, v8, -v2
	v_mul_f32_e32 v4, v1, v8
	v_fmac_f32_e32 v3, v1, v7
	v_add_co_u32 v0, vcc_lo, s0, v5
	v_fmac_f32_e32 v4, v2, v7
	v_add_co_ci_u32_e64 v1, null, s1, v6, vcc_lo
                                        ; implicit-def: $vgpr5
                                        ; implicit-def: $vgpr7_vgpr8
	global_store_dwordx2 v[0:1], v[3:4], off
                                        ; implicit-def: $vgpr3_vgpr4
                                        ; implicit-def: $vgpr1_vgpr2
.LBB5_20:
	s_andn2_saveexec_b32 s2, s2
	s_cbranch_execz .LBB5_22
; %bb.21:
	v_lshlrev_b64 v[5:6], 3, v[5:6]
	s_waitcnt lgkmcnt(0)
	v_add_co_u32 v5, vcc_lo, s0, v5
	v_add_co_ci_u32_e64 v6, null, s1, v6, vcc_lo
	global_load_dwordx2 v[9:10], v[5:6], off
	s_waitcnt vmcnt(0)
	v_mul_f32_e64 v0, v10, -v4
	v_mul_f32_e32 v10, v10, v3
	v_fmac_f32_e32 v0, v3, v9
	v_fmac_f32_e32 v10, v4, v9
	v_fmac_f32_e32 v0, v1, v7
	v_fmac_f32_e32 v10, v2, v7
	v_fma_f32 v9, -v2, v8, v0
	v_fmac_f32_e32 v10, v1, v8
	global_store_dwordx2 v[5:6], v[9:10], off
.LBB5_22:
	s_endpgm
	.section	.rodata,"a",@progbits
	.p2align	6, 0x0
	.amdhsa_kernel _ZN9rocsparseL12gemvi_kernelILj1024ELj64Ei21rocsparse_complex_numIfEEEvT1_S3_NS_24const_host_device_scalarIT2_EEPKS5_lS3_S8_PKS3_S6_PS5_21rocsparse_index_base_b
		.amdhsa_group_segment_fixed_size 8192
		.amdhsa_private_segment_fixed_size 0
		.amdhsa_kernarg_size 80
		.amdhsa_user_sgpr_count 6
		.amdhsa_user_sgpr_private_segment_buffer 1
		.amdhsa_user_sgpr_dispatch_ptr 0
		.amdhsa_user_sgpr_queue_ptr 0
		.amdhsa_user_sgpr_kernarg_segment_ptr 1
		.amdhsa_user_sgpr_dispatch_id 0
		.amdhsa_user_sgpr_flat_scratch_init 0
		.amdhsa_user_sgpr_private_segment_size 0
		.amdhsa_wavefront_size32 1
		.amdhsa_uses_dynamic_stack 0
		.amdhsa_system_sgpr_private_segment_wavefront_offset 0
		.amdhsa_system_sgpr_workgroup_id_x 1
		.amdhsa_system_sgpr_workgroup_id_y 0
		.amdhsa_system_sgpr_workgroup_id_z 0
		.amdhsa_system_sgpr_workgroup_info 0
		.amdhsa_system_vgpr_workitem_id 0
		.amdhsa_next_free_vgpr 20
		.amdhsa_next_free_sgpr 16
		.amdhsa_reserve_vcc 1
		.amdhsa_reserve_flat_scratch 0
		.amdhsa_float_round_mode_32 0
		.amdhsa_float_round_mode_16_64 0
		.amdhsa_float_denorm_mode_32 3
		.amdhsa_float_denorm_mode_16_64 3
		.amdhsa_dx10_clamp 1
		.amdhsa_ieee_mode 1
		.amdhsa_fp16_overflow 0
		.amdhsa_workgroup_processor_mode 1
		.amdhsa_memory_ordered 1
		.amdhsa_forward_progress 1
		.amdhsa_shared_vgpr_count 0
		.amdhsa_exception_fp_ieee_invalid_op 0
		.amdhsa_exception_fp_denorm_src 0
		.amdhsa_exception_fp_ieee_div_zero 0
		.amdhsa_exception_fp_ieee_overflow 0
		.amdhsa_exception_fp_ieee_underflow 0
		.amdhsa_exception_fp_ieee_inexact 0
		.amdhsa_exception_int_div_zero 0
	.end_amdhsa_kernel
	.section	.text._ZN9rocsparseL12gemvi_kernelILj1024ELj64Ei21rocsparse_complex_numIfEEEvT1_S3_NS_24const_host_device_scalarIT2_EEPKS5_lS3_S8_PKS3_S6_PS5_21rocsparse_index_base_b,"axG",@progbits,_ZN9rocsparseL12gemvi_kernelILj1024ELj64Ei21rocsparse_complex_numIfEEEvT1_S3_NS_24const_host_device_scalarIT2_EEPKS5_lS3_S8_PKS3_S6_PS5_21rocsparse_index_base_b,comdat
.Lfunc_end5:
	.size	_ZN9rocsparseL12gemvi_kernelILj1024ELj64Ei21rocsparse_complex_numIfEEEvT1_S3_NS_24const_host_device_scalarIT2_EEPKS5_lS3_S8_PKS3_S6_PS5_21rocsparse_index_base_b, .Lfunc_end5-_ZN9rocsparseL12gemvi_kernelILj1024ELj64Ei21rocsparse_complex_numIfEEEvT1_S3_NS_24const_host_device_scalarIT2_EEPKS5_lS3_S8_PKS3_S6_PS5_21rocsparse_index_base_b
                                        ; -- End function
	.set _ZN9rocsparseL12gemvi_kernelILj1024ELj64Ei21rocsparse_complex_numIfEEEvT1_S3_NS_24const_host_device_scalarIT2_EEPKS5_lS3_S8_PKS3_S6_PS5_21rocsparse_index_base_b.num_vgpr, 20
	.set _ZN9rocsparseL12gemvi_kernelILj1024ELj64Ei21rocsparse_complex_numIfEEEvT1_S3_NS_24const_host_device_scalarIT2_EEPKS5_lS3_S8_PKS3_S6_PS5_21rocsparse_index_base_b.num_agpr, 0
	.set _ZN9rocsparseL12gemvi_kernelILj1024ELj64Ei21rocsparse_complex_numIfEEEvT1_S3_NS_24const_host_device_scalarIT2_EEPKS5_lS3_S8_PKS3_S6_PS5_21rocsparse_index_base_b.numbered_sgpr, 16
	.set _ZN9rocsparseL12gemvi_kernelILj1024ELj64Ei21rocsparse_complex_numIfEEEvT1_S3_NS_24const_host_device_scalarIT2_EEPKS5_lS3_S8_PKS3_S6_PS5_21rocsparse_index_base_b.num_named_barrier, 0
	.set _ZN9rocsparseL12gemvi_kernelILj1024ELj64Ei21rocsparse_complex_numIfEEEvT1_S3_NS_24const_host_device_scalarIT2_EEPKS5_lS3_S8_PKS3_S6_PS5_21rocsparse_index_base_b.private_seg_size, 0
	.set _ZN9rocsparseL12gemvi_kernelILj1024ELj64Ei21rocsparse_complex_numIfEEEvT1_S3_NS_24const_host_device_scalarIT2_EEPKS5_lS3_S8_PKS3_S6_PS5_21rocsparse_index_base_b.uses_vcc, 1
	.set _ZN9rocsparseL12gemvi_kernelILj1024ELj64Ei21rocsparse_complex_numIfEEEvT1_S3_NS_24const_host_device_scalarIT2_EEPKS5_lS3_S8_PKS3_S6_PS5_21rocsparse_index_base_b.uses_flat_scratch, 0
	.set _ZN9rocsparseL12gemvi_kernelILj1024ELj64Ei21rocsparse_complex_numIfEEEvT1_S3_NS_24const_host_device_scalarIT2_EEPKS5_lS3_S8_PKS3_S6_PS5_21rocsparse_index_base_b.has_dyn_sized_stack, 0
	.set _ZN9rocsparseL12gemvi_kernelILj1024ELj64Ei21rocsparse_complex_numIfEEEvT1_S3_NS_24const_host_device_scalarIT2_EEPKS5_lS3_S8_PKS3_S6_PS5_21rocsparse_index_base_b.has_recursion, 0
	.set _ZN9rocsparseL12gemvi_kernelILj1024ELj64Ei21rocsparse_complex_numIfEEEvT1_S3_NS_24const_host_device_scalarIT2_EEPKS5_lS3_S8_PKS3_S6_PS5_21rocsparse_index_base_b.has_indirect_call, 0
	.section	.AMDGPU.csdata,"",@progbits
; Kernel info:
; codeLenInByte = 1144
; TotalNumSgprs: 18
; NumVgprs: 20
; ScratchSize: 0
; MemoryBound: 0
; FloatMode: 240
; IeeeMode: 1
; LDSByteSize: 8192 bytes/workgroup (compile time only)
; SGPRBlocks: 0
; VGPRBlocks: 2
; NumSGPRsForWavesPerEU: 18
; NumVGPRsForWavesPerEU: 20
; Occupancy: 16
; WaveLimiterHint : 1
; COMPUTE_PGM_RSRC2:SCRATCH_EN: 0
; COMPUTE_PGM_RSRC2:USER_SGPR: 6
; COMPUTE_PGM_RSRC2:TRAP_HANDLER: 0
; COMPUTE_PGM_RSRC2:TGID_X_EN: 1
; COMPUTE_PGM_RSRC2:TGID_Y_EN: 0
; COMPUTE_PGM_RSRC2:TGID_Z_EN: 0
; COMPUTE_PGM_RSRC2:TIDIG_COMP_CNT: 0
	.section	.text._ZN9rocsparseL12gemvi_kernelILj1024ELj32Ei21rocsparse_complex_numIdEEEvT1_S3_NS_24const_host_device_scalarIT2_EEPKS5_lS3_S8_PKS3_S6_PS5_21rocsparse_index_base_b,"axG",@progbits,_ZN9rocsparseL12gemvi_kernelILj1024ELj32Ei21rocsparse_complex_numIdEEEvT1_S3_NS_24const_host_device_scalarIT2_EEPKS5_lS3_S8_PKS3_S6_PS5_21rocsparse_index_base_b,comdat
	.globl	_ZN9rocsparseL12gemvi_kernelILj1024ELj32Ei21rocsparse_complex_numIdEEEvT1_S3_NS_24const_host_device_scalarIT2_EEPKS5_lS3_S8_PKS3_S6_PS5_21rocsparse_index_base_b ; -- Begin function _ZN9rocsparseL12gemvi_kernelILj1024ELj32Ei21rocsparse_complex_numIdEEEvT1_S3_NS_24const_host_device_scalarIT2_EEPKS5_lS3_S8_PKS3_S6_PS5_21rocsparse_index_base_b
	.p2align	8
	.type	_ZN9rocsparseL12gemvi_kernelILj1024ELj32Ei21rocsparse_complex_numIdEEEvT1_S3_NS_24const_host_device_scalarIT2_EEPKS5_lS3_S8_PKS3_S6_PS5_21rocsparse_index_base_b,@function
_ZN9rocsparseL12gemvi_kernelILj1024ELj32Ei21rocsparse_complex_numIdEEEvT1_S3_NS_24const_host_device_scalarIT2_EEPKS5_lS3_S8_PKS3_S6_PS5_21rocsparse_index_base_b: ; @_ZN9rocsparseL12gemvi_kernelILj1024ELj32Ei21rocsparse_complex_numIdEEEvT1_S3_NS_24const_host_device_scalarIT2_EEPKS5_lS3_S8_PKS3_S6_PS5_21rocsparse_index_base_b
; %bb.0:
	s_clause 0x1
	s_load_dwordx2 s[8:9], s[4:5], 0x58
	s_load_dwordx2 s[0:1], s[4:5], 0x8
	s_add_u32 s7, s4, 8
	s_addc_u32 s10, s5, 0
	s_add_u32 s11, s4, 64
	s_addc_u32 s12, s5, 0
	s_load_dwordx2 s[2:3], s[4:5], 0x40
	s_waitcnt lgkmcnt(0)
	s_bitcmp1_b32 s9, 0
	s_cselect_b32 s0, s7, s0
	s_cselect_b32 s1, s10, s1
	v_mov_b32_e32 v1, s0
	v_mov_b32_e32 v2, s1
	s_cselect_b32 s0, s11, s2
	s_cselect_b32 s1, s12, s3
	v_mov_b32_e32 v5, s0
	v_mov_b32_e32 v6, s1
	flat_load_dwordx4 v[1:4], v[1:2]
	flat_load_dwordx4 v[5:8], v[5:6]
	s_waitcnt vmcnt(1) lgkmcnt(1)
	v_cmp_eq_f64_e32 vcc_lo, 0, v[1:2]
	v_cmp_eq_f64_e64 s0, 0, v[3:4]
	s_and_b32 s2, vcc_lo, s0
	s_mov_b32 s0, -1
	s_and_saveexec_b32 s1, s2
	s_cbranch_execz .LBB6_2
; %bb.1:
	s_waitcnt vmcnt(0) lgkmcnt(0)
	v_cmp_neq_f64_e32 vcc_lo, 1.0, v[5:6]
	v_cmp_neq_f64_e64 s0, 0, v[7:8]
	s_or_b32 s0, vcc_lo, s0
	s_orn2_b32 s0, s0, exec_lo
.LBB6_2:
	s_or_b32 exec_lo, exec_lo, s1
	s_and_saveexec_b32 s1, s0
	s_cbranch_execz .LBB6_24
; %bb.3:
	s_load_dword s0, s[4:5], 0x0
	v_mov_b32_e32 v9, 0
	v_mov_b32_e32 v10, 0
	v_and_b32_e32 v18, 31, v0
	v_mov_b32_e32 v12, v10
	v_lshl_or_b32 v13, s6, 5, v18
	v_mov_b32_e32 v11, v9
	s_mov_b32 s6, exec_lo
	s_waitcnt lgkmcnt(0)
	v_cmp_le_i32_e32 vcc_lo, s0, v13
	v_cmpx_gt_i32_e64 s0, v13
	s_cbranch_execz .LBB6_9
; %bb.4:
	s_load_dword s7, s[4:5], 0x28
	v_mov_b32_e32 v11, 0
	v_mov_b32_e32 v9, 0
	v_lshrrev_b32_e32 v19, 5, v0
	v_mov_b32_e32 v12, 0
	v_mov_b32_e32 v10, 0
	s_mov_b32 s9, exec_lo
	s_waitcnt lgkmcnt(0)
	v_cmpx_gt_i32_e64 s7, v19
	s_cbranch_execz .LBB6_8
; %bb.5:
	s_clause 0x1
	s_load_dwordx4 s[0:3], s[4:5], 0x18
	s_load_dwordx4 s[12:15], s[4:5], 0x30
	v_ashrrev_i32_e32 v14, 31, v13
	v_lshrrev_b32_e32 v15, 5, v0
	v_mov_b32_e32 v11, 0
	v_mov_b32_e32 v12, 0
	s_mov_b32 s10, 0
	v_lshlrev_b64 v[9:10], 4, v[13:14]
	v_lshlrev_b32_e32 v14, 4, v15
	v_lshlrev_b32_e32 v15, 2, v15
	s_waitcnt lgkmcnt(0)
	v_add_co_u32 v20, s0, s0, v9
	v_add_co_ci_u32_e64 v21, null, s1, v10, s0
	v_add_co_u32 v9, s0, s12, v14
	v_add_co_ci_u32_e64 v10, null, s13, 0, s0
	;; [unrolled: 2-line block ×4, first 2 shown]
	v_mov_b32_e32 v9, v11
	v_mov_b32_e32 v10, v12
	s_inst_prefetch 0x1
	.p2align	6
.LBB6_6:                                ; =>This Inner Loop Header: Depth=1
	global_load_dword v22, v[14:15], off
	v_add_nc_u32_e32 v19, 32, v19
	v_add_co_u32 v14, s1, 0x80, v14
	v_add_co_ci_u32_e64 v15, null, 0, v15, s1
	s_waitcnt vmcnt(0)
	v_subrev_nc_u32_e32 v22, s8, v22
	v_ashrrev_i32_e32 v24, 31, v22
	v_mul_lo_u32 v25, s3, v22
	v_mad_u64_u32 v[22:23], null, s2, v22, 0
	v_mul_lo_u32 v24, s2, v24
	v_add3_u32 v23, v23, v24, v25
	v_lshlrev_b64 v[22:23], 4, v[22:23]
	v_add_co_u32 v26, s0, v20, v22
	v_add_co_ci_u32_e64 v27, null, v21, v23, s0
	global_load_dwordx4 v[22:25], v[16:17], off offset:-8
	global_load_dwordx4 v[26:29], v[26:27], off
	v_add_co_u32 v16, s0, 0x200, v16
	v_add_co_ci_u32_e64 v17, null, 0, v17, s0
	v_cmp_le_i32_e64 s0, s7, v19
	s_or_b32 s10, s0, s10
	s_waitcnt vmcnt(0)
	v_fma_f64 v[9:10], v[22:23], v[26:27], v[9:10]
	v_fma_f64 v[11:12], v[24:25], v[26:27], v[11:12]
	v_fma_f64 v[9:10], -v[24:25], v[28:29], v[9:10]
	v_fma_f64 v[11:12], v[22:23], v[28:29], v[11:12]
	s_andn2_b32 exec_lo, exec_lo, s10
	s_cbranch_execnz .LBB6_6
; %bb.7:
	s_inst_prefetch 0x2
	s_or_b32 exec_lo, exec_lo, s10
.LBB6_8:
	s_or_b32 exec_lo, exec_lo, s9
.LBB6_9:
	s_or_b32 exec_lo, exec_lo, s6
	v_lshlrev_b32_e32 v14, 4, v0
	s_mov_b32 s1, exec_lo
	ds_write_b128 v14, v[9:12]
	s_waitcnt vmcnt(0) lgkmcnt(0)
	s_barrier
	buffer_gl0_inv
	v_cmpx_gt_u32_e32 0x200, v0
	s_cbranch_execz .LBB6_11
; %bb.10:
	ds_read_b128 v[9:12], v14 offset:8192
	ds_read_b128 v[19:22], v14
	s_waitcnt lgkmcnt(0)
	v_add_f64 v[9:10], v[9:10], v[19:20]
	v_add_f64 v[11:12], v[11:12], v[21:22]
	ds_write_b128 v14, v[9:12]
.LBB6_11:
	s_or_b32 exec_lo, exec_lo, s1
	s_mov_b32 s1, exec_lo
	s_waitcnt lgkmcnt(0)
	s_barrier
	buffer_gl0_inv
	v_cmpx_gt_u32_e32 0x100, v0
	s_cbranch_execz .LBB6_13
; %bb.12:
	ds_read_b128 v[9:12], v14 offset:4096
	ds_read_b128 v[19:22], v14
	s_waitcnt lgkmcnt(0)
	v_add_f64 v[9:10], v[9:10], v[19:20]
	v_add_f64 v[11:12], v[11:12], v[21:22]
	ds_write_b128 v14, v[9:12]
.LBB6_13:
	s_or_b32 exec_lo, exec_lo, s1
	s_mov_b32 s1, exec_lo
	s_waitcnt lgkmcnt(0)
	;; [unrolled: 15-line block ×3, first 2 shown]
	s_barrier
	buffer_gl0_inv
	v_cmpx_gt_u32_e32 64, v0
	s_cbranch_execz .LBB6_17
; %bb.16:
	ds_read_b128 v[9:12], v14 offset:1024
	ds_read_b128 v[19:22], v14
	s_waitcnt lgkmcnt(0)
	v_add_f64 v[9:10], v[9:10], v[19:20]
	v_add_f64 v[11:12], v[11:12], v[21:22]
	ds_write_b128 v14, v[9:12]
.LBB6_17:
	s_or_b32 exec_lo, exec_lo, s1
	v_cmp_lt_u32_e64 s0, 31, v0
	v_cmp_gt_u32_e64 s1, 32, v0
	v_lshlrev_b32_e32 v0, 4, v18
	s_waitcnt lgkmcnt(0)
	s_barrier
	buffer_gl0_inv
	s_and_saveexec_b32 s2, s1
	s_cbranch_execz .LBB6_19
; %bb.18:
	ds_read_b128 v[9:12], v0 offset:512
	ds_read_b128 v[15:18], v14
	s_waitcnt lgkmcnt(0)
	v_add_f64 v[9:10], v[9:10], v[15:16]
	v_add_f64 v[11:12], v[11:12], v[17:18]
	ds_write_b128 v14, v[9:12]
.LBB6_19:
	s_or_b32 exec_lo, exec_lo, s2
	s_nor_b32 s0, s0, vcc_lo
	s_and_b32 exec_lo, exec_lo, s0
	s_cbranch_execz .LBB6_24
; %bb.20:
	v_cmp_eq_f64_e32 vcc_lo, 0, v[5:6]
	v_cmp_eq_f64_e64 s0, 0, v[7:8]
	s_load_dwordx2 s[2:3], s[4:5], 0x50
	ds_read_b128 v[9:12], v0
	v_ashrrev_i32_e32 v14, 31, v13
	s_and_b32 s0, vcc_lo, s0
	s_and_saveexec_b32 s1, s0
	s_xor_b32 s0, exec_lo, s1
	s_cbranch_execz .LBB6_22
; %bb.21:
	s_waitcnt lgkmcnt(0)
	v_mul_f64 v[5:6], v[11:12], -v[3:4]
	v_mul_f64 v[7:8], v[1:2], v[11:12]
	v_fma_f64 v[0:1], v[1:2], v[9:10], v[5:6]
	v_fma_f64 v[2:3], v[3:4], v[9:10], v[7:8]
	v_lshlrev_b64 v[4:5], 4, v[13:14]
                                        ; implicit-def: $vgpr13
                                        ; implicit-def: $vgpr9_vgpr10
	v_add_co_u32 v4, vcc_lo, s2, v4
	v_add_co_ci_u32_e64 v5, null, s3, v5, vcc_lo
	global_store_dwordx4 v[4:5], v[0:3], off
                                        ; implicit-def: $vgpr7_vgpr8
                                        ; implicit-def: $vgpr1_vgpr2
.LBB6_22:
	s_andn2_saveexec_b32 s0, s0
	s_cbranch_execz .LBB6_24
; %bb.23:
	v_lshlrev_b64 v[13:14], 4, v[13:14]
	s_waitcnt lgkmcnt(0)
	v_add_co_u32 v17, vcc_lo, s2, v13
	v_add_co_ci_u32_e64 v18, null, s3, v14, vcc_lo
	global_load_dwordx4 v[13:16], v[17:18], off
	s_waitcnt vmcnt(0)
	v_mul_f64 v[19:20], v[15:16], -v[7:8]
	v_mul_f64 v[15:16], v[5:6], v[15:16]
	v_fma_f64 v[5:6], v[5:6], v[13:14], v[19:20]
	v_fma_f64 v[7:8], v[7:8], v[13:14], v[15:16]
	;; [unrolled: 1-line block ×4, first 2 shown]
	v_fma_f64 v[3:4], -v[3:4], v[11:12], v[5:6]
	v_fma_f64 v[5:6], v[1:2], v[11:12], v[7:8]
	global_store_dwordx4 v[17:18], v[3:6], off
.LBB6_24:
	s_endpgm
	.section	.rodata,"a",@progbits
	.p2align	6, 0x0
	.amdhsa_kernel _ZN9rocsparseL12gemvi_kernelILj1024ELj32Ei21rocsparse_complex_numIdEEEvT1_S3_NS_24const_host_device_scalarIT2_EEPKS5_lS3_S8_PKS3_S6_PS5_21rocsparse_index_base_b
		.amdhsa_group_segment_fixed_size 16384
		.amdhsa_private_segment_fixed_size 0
		.amdhsa_kernarg_size 96
		.amdhsa_user_sgpr_count 6
		.amdhsa_user_sgpr_private_segment_buffer 1
		.amdhsa_user_sgpr_dispatch_ptr 0
		.amdhsa_user_sgpr_queue_ptr 0
		.amdhsa_user_sgpr_kernarg_segment_ptr 1
		.amdhsa_user_sgpr_dispatch_id 0
		.amdhsa_user_sgpr_flat_scratch_init 0
		.amdhsa_user_sgpr_private_segment_size 0
		.amdhsa_wavefront_size32 1
		.amdhsa_uses_dynamic_stack 0
		.amdhsa_system_sgpr_private_segment_wavefront_offset 0
		.amdhsa_system_sgpr_workgroup_id_x 1
		.amdhsa_system_sgpr_workgroup_id_y 0
		.amdhsa_system_sgpr_workgroup_id_z 0
		.amdhsa_system_sgpr_workgroup_info 0
		.amdhsa_system_vgpr_workitem_id 0
		.amdhsa_next_free_vgpr 30
		.amdhsa_next_free_sgpr 16
		.amdhsa_reserve_vcc 1
		.amdhsa_reserve_flat_scratch 0
		.amdhsa_float_round_mode_32 0
		.amdhsa_float_round_mode_16_64 0
		.amdhsa_float_denorm_mode_32 3
		.amdhsa_float_denorm_mode_16_64 3
		.amdhsa_dx10_clamp 1
		.amdhsa_ieee_mode 1
		.amdhsa_fp16_overflow 0
		.amdhsa_workgroup_processor_mode 1
		.amdhsa_memory_ordered 1
		.amdhsa_forward_progress 1
		.amdhsa_shared_vgpr_count 0
		.amdhsa_exception_fp_ieee_invalid_op 0
		.amdhsa_exception_fp_denorm_src 0
		.amdhsa_exception_fp_ieee_div_zero 0
		.amdhsa_exception_fp_ieee_overflow 0
		.amdhsa_exception_fp_ieee_underflow 0
		.amdhsa_exception_fp_ieee_inexact 0
		.amdhsa_exception_int_div_zero 0
	.end_amdhsa_kernel
	.section	.text._ZN9rocsparseL12gemvi_kernelILj1024ELj32Ei21rocsparse_complex_numIdEEEvT1_S3_NS_24const_host_device_scalarIT2_EEPKS5_lS3_S8_PKS3_S6_PS5_21rocsparse_index_base_b,"axG",@progbits,_ZN9rocsparseL12gemvi_kernelILj1024ELj32Ei21rocsparse_complex_numIdEEEvT1_S3_NS_24const_host_device_scalarIT2_EEPKS5_lS3_S8_PKS3_S6_PS5_21rocsparse_index_base_b,comdat
.Lfunc_end6:
	.size	_ZN9rocsparseL12gemvi_kernelILj1024ELj32Ei21rocsparse_complex_numIdEEEvT1_S3_NS_24const_host_device_scalarIT2_EEPKS5_lS3_S8_PKS3_S6_PS5_21rocsparse_index_base_b, .Lfunc_end6-_ZN9rocsparseL12gemvi_kernelILj1024ELj32Ei21rocsparse_complex_numIdEEEvT1_S3_NS_24const_host_device_scalarIT2_EEPKS5_lS3_S8_PKS3_S6_PS5_21rocsparse_index_base_b
                                        ; -- End function
	.set _ZN9rocsparseL12gemvi_kernelILj1024ELj32Ei21rocsparse_complex_numIdEEEvT1_S3_NS_24const_host_device_scalarIT2_EEPKS5_lS3_S8_PKS3_S6_PS5_21rocsparse_index_base_b.num_vgpr, 30
	.set _ZN9rocsparseL12gemvi_kernelILj1024ELj32Ei21rocsparse_complex_numIdEEEvT1_S3_NS_24const_host_device_scalarIT2_EEPKS5_lS3_S8_PKS3_S6_PS5_21rocsparse_index_base_b.num_agpr, 0
	.set _ZN9rocsparseL12gemvi_kernelILj1024ELj32Ei21rocsparse_complex_numIdEEEvT1_S3_NS_24const_host_device_scalarIT2_EEPKS5_lS3_S8_PKS3_S6_PS5_21rocsparse_index_base_b.numbered_sgpr, 16
	.set _ZN9rocsparseL12gemvi_kernelILj1024ELj32Ei21rocsparse_complex_numIdEEEvT1_S3_NS_24const_host_device_scalarIT2_EEPKS5_lS3_S8_PKS3_S6_PS5_21rocsparse_index_base_b.num_named_barrier, 0
	.set _ZN9rocsparseL12gemvi_kernelILj1024ELj32Ei21rocsparse_complex_numIdEEEvT1_S3_NS_24const_host_device_scalarIT2_EEPKS5_lS3_S8_PKS3_S6_PS5_21rocsparse_index_base_b.private_seg_size, 0
	.set _ZN9rocsparseL12gemvi_kernelILj1024ELj32Ei21rocsparse_complex_numIdEEEvT1_S3_NS_24const_host_device_scalarIT2_EEPKS5_lS3_S8_PKS3_S6_PS5_21rocsparse_index_base_b.uses_vcc, 1
	.set _ZN9rocsparseL12gemvi_kernelILj1024ELj32Ei21rocsparse_complex_numIdEEEvT1_S3_NS_24const_host_device_scalarIT2_EEPKS5_lS3_S8_PKS3_S6_PS5_21rocsparse_index_base_b.uses_flat_scratch, 0
	.set _ZN9rocsparseL12gemvi_kernelILj1024ELj32Ei21rocsparse_complex_numIdEEEvT1_S3_NS_24const_host_device_scalarIT2_EEPKS5_lS3_S8_PKS3_S6_PS5_21rocsparse_index_base_b.has_dyn_sized_stack, 0
	.set _ZN9rocsparseL12gemvi_kernelILj1024ELj32Ei21rocsparse_complex_numIdEEEvT1_S3_NS_24const_host_device_scalarIT2_EEPKS5_lS3_S8_PKS3_S6_PS5_21rocsparse_index_base_b.has_recursion, 0
	.set _ZN9rocsparseL12gemvi_kernelILj1024ELj32Ei21rocsparse_complex_numIdEEEvT1_S3_NS_24const_host_device_scalarIT2_EEPKS5_lS3_S8_PKS3_S6_PS5_21rocsparse_index_base_b.has_indirect_call, 0
	.section	.AMDGPU.csdata,"",@progbits
; Kernel info:
; codeLenInByte = 1328
; TotalNumSgprs: 18
; NumVgprs: 30
; ScratchSize: 0
; MemoryBound: 0
; FloatMode: 240
; IeeeMode: 1
; LDSByteSize: 16384 bytes/workgroup (compile time only)
; SGPRBlocks: 0
; VGPRBlocks: 3
; NumSGPRsForWavesPerEU: 18
; NumVGPRsForWavesPerEU: 30
; Occupancy: 16
; WaveLimiterHint : 1
; COMPUTE_PGM_RSRC2:SCRATCH_EN: 0
; COMPUTE_PGM_RSRC2:USER_SGPR: 6
; COMPUTE_PGM_RSRC2:TRAP_HANDLER: 0
; COMPUTE_PGM_RSRC2:TGID_X_EN: 1
; COMPUTE_PGM_RSRC2:TGID_Y_EN: 0
; COMPUTE_PGM_RSRC2:TGID_Z_EN: 0
; COMPUTE_PGM_RSRC2:TIDIG_COMP_CNT: 0
	.section	.text._ZN9rocsparseL12gemvi_kernelILj1024ELj64Ei21rocsparse_complex_numIdEEEvT1_S3_NS_24const_host_device_scalarIT2_EEPKS5_lS3_S8_PKS3_S6_PS5_21rocsparse_index_base_b,"axG",@progbits,_ZN9rocsparseL12gemvi_kernelILj1024ELj64Ei21rocsparse_complex_numIdEEEvT1_S3_NS_24const_host_device_scalarIT2_EEPKS5_lS3_S8_PKS3_S6_PS5_21rocsparse_index_base_b,comdat
	.globl	_ZN9rocsparseL12gemvi_kernelILj1024ELj64Ei21rocsparse_complex_numIdEEEvT1_S3_NS_24const_host_device_scalarIT2_EEPKS5_lS3_S8_PKS3_S6_PS5_21rocsparse_index_base_b ; -- Begin function _ZN9rocsparseL12gemvi_kernelILj1024ELj64Ei21rocsparse_complex_numIdEEEvT1_S3_NS_24const_host_device_scalarIT2_EEPKS5_lS3_S8_PKS3_S6_PS5_21rocsparse_index_base_b
	.p2align	8
	.type	_ZN9rocsparseL12gemvi_kernelILj1024ELj64Ei21rocsparse_complex_numIdEEEvT1_S3_NS_24const_host_device_scalarIT2_EEPKS5_lS3_S8_PKS3_S6_PS5_21rocsparse_index_base_b,@function
_ZN9rocsparseL12gemvi_kernelILj1024ELj64Ei21rocsparse_complex_numIdEEEvT1_S3_NS_24const_host_device_scalarIT2_EEPKS5_lS3_S8_PKS3_S6_PS5_21rocsparse_index_base_b: ; @_ZN9rocsparseL12gemvi_kernelILj1024ELj64Ei21rocsparse_complex_numIdEEEvT1_S3_NS_24const_host_device_scalarIT2_EEPKS5_lS3_S8_PKS3_S6_PS5_21rocsparse_index_base_b
; %bb.0:
	s_clause 0x1
	s_load_dwordx2 s[8:9], s[4:5], 0x58
	s_load_dwordx2 s[0:1], s[4:5], 0x8
	s_add_u32 s7, s4, 8
	s_addc_u32 s10, s5, 0
	s_add_u32 s11, s4, 64
	s_addc_u32 s12, s5, 0
	s_load_dwordx2 s[2:3], s[4:5], 0x40
	s_waitcnt lgkmcnt(0)
	s_bitcmp1_b32 s9, 0
	s_cselect_b32 s0, s7, s0
	s_cselect_b32 s1, s10, s1
	v_mov_b32_e32 v1, s0
	v_mov_b32_e32 v2, s1
	s_cselect_b32 s0, s11, s2
	s_cselect_b32 s1, s12, s3
	v_mov_b32_e32 v5, s0
	v_mov_b32_e32 v6, s1
	flat_load_dwordx4 v[1:4], v[1:2]
	flat_load_dwordx4 v[5:8], v[5:6]
	s_waitcnt vmcnt(1) lgkmcnt(1)
	v_cmp_eq_f64_e32 vcc_lo, 0, v[1:2]
	v_cmp_eq_f64_e64 s0, 0, v[3:4]
	s_and_b32 s2, vcc_lo, s0
	s_mov_b32 s0, -1
	s_and_saveexec_b32 s1, s2
	s_cbranch_execz .LBB7_2
; %bb.1:
	s_waitcnt vmcnt(0) lgkmcnt(0)
	v_cmp_neq_f64_e32 vcc_lo, 1.0, v[5:6]
	v_cmp_neq_f64_e64 s0, 0, v[7:8]
	s_or_b32 s0, vcc_lo, s0
	s_orn2_b32 s0, s0, exec_lo
.LBB7_2:
	s_or_b32 exec_lo, exec_lo, s1
	s_and_saveexec_b32 s1, s0
	s_cbranch_execz .LBB7_22
; %bb.3:
	s_load_dword s0, s[4:5], 0x0
	v_mov_b32_e32 v9, 0
	v_mov_b32_e32 v10, 0
	v_and_b32_e32 v18, 63, v0
	v_mov_b32_e32 v12, v10
	v_lshl_or_b32 v13, s6, 6, v18
	v_mov_b32_e32 v11, v9
	s_mov_b32 s6, exec_lo
	s_waitcnt lgkmcnt(0)
	v_cmp_le_i32_e32 vcc_lo, s0, v13
	v_cmpx_gt_i32_e64 s0, v13
	s_cbranch_execz .LBB7_9
; %bb.4:
	s_load_dword s7, s[4:5], 0x28
	v_mov_b32_e32 v11, 0
	v_mov_b32_e32 v9, 0
	v_lshrrev_b32_e32 v19, 6, v0
	v_mov_b32_e32 v12, 0
	v_mov_b32_e32 v10, 0
	s_mov_b32 s9, exec_lo
	s_waitcnt lgkmcnt(0)
	v_cmpx_gt_i32_e64 s7, v19
	s_cbranch_execz .LBB7_8
; %bb.5:
	s_clause 0x1
	s_load_dwordx4 s[0:3], s[4:5], 0x18
	s_load_dwordx4 s[12:15], s[4:5], 0x30
	v_ashrrev_i32_e32 v14, 31, v13
	v_lshrrev_b32_e32 v15, 6, v0
	v_mov_b32_e32 v11, 0
	v_mov_b32_e32 v12, 0
	s_mov_b32 s10, 0
	v_lshlrev_b64 v[9:10], 4, v[13:14]
	v_lshlrev_b32_e32 v14, 4, v15
	v_lshlrev_b32_e32 v15, 2, v15
	s_waitcnt lgkmcnt(0)
	v_add_co_u32 v20, s0, s0, v9
	v_add_co_ci_u32_e64 v21, null, s1, v10, s0
	v_add_co_u32 v9, s0, s12, v14
	v_add_co_ci_u32_e64 v10, null, s13, 0, s0
	;; [unrolled: 2-line block ×4, first 2 shown]
	v_mov_b32_e32 v9, v11
	v_mov_b32_e32 v10, v12
	s_inst_prefetch 0x1
	.p2align	6
.LBB7_6:                                ; =>This Inner Loop Header: Depth=1
	global_load_dword v22, v[14:15], off
	v_add_nc_u32_e32 v19, 16, v19
	v_add_co_u32 v14, s1, v14, 64
	v_add_co_ci_u32_e64 v15, null, 0, v15, s1
	s_waitcnt vmcnt(0)
	v_subrev_nc_u32_e32 v22, s8, v22
	v_ashrrev_i32_e32 v24, 31, v22
	v_mul_lo_u32 v25, s3, v22
	v_mad_u64_u32 v[22:23], null, s2, v22, 0
	v_mul_lo_u32 v24, s2, v24
	v_add3_u32 v23, v23, v24, v25
	v_lshlrev_b64 v[22:23], 4, v[22:23]
	v_add_co_u32 v26, s0, v20, v22
	v_add_co_ci_u32_e64 v27, null, v21, v23, s0
	global_load_dwordx4 v[22:25], v[16:17], off offset:-8
	global_load_dwordx4 v[26:29], v[26:27], off
	v_add_co_u32 v16, s0, 0x100, v16
	v_add_co_ci_u32_e64 v17, null, 0, v17, s0
	v_cmp_le_i32_e64 s0, s7, v19
	s_or_b32 s10, s0, s10
	s_waitcnt vmcnt(0)
	v_fma_f64 v[9:10], v[22:23], v[26:27], v[9:10]
	v_fma_f64 v[11:12], v[24:25], v[26:27], v[11:12]
	v_fma_f64 v[9:10], -v[24:25], v[28:29], v[9:10]
	v_fma_f64 v[11:12], v[22:23], v[28:29], v[11:12]
	s_andn2_b32 exec_lo, exec_lo, s10
	s_cbranch_execnz .LBB7_6
; %bb.7:
	s_inst_prefetch 0x2
	s_or_b32 exec_lo, exec_lo, s10
.LBB7_8:
	s_or_b32 exec_lo, exec_lo, s9
.LBB7_9:
	s_or_b32 exec_lo, exec_lo, s6
	v_lshlrev_b32_e32 v14, 4, v0
	s_mov_b32 s1, exec_lo
	ds_write_b128 v14, v[9:12]
	s_waitcnt vmcnt(0) lgkmcnt(0)
	s_barrier
	buffer_gl0_inv
	v_cmpx_gt_u32_e32 0x200, v0
	s_cbranch_execz .LBB7_11
; %bb.10:
	ds_read_b128 v[9:12], v14 offset:8192
	ds_read_b128 v[19:22], v14
	s_waitcnt lgkmcnt(0)
	v_add_f64 v[9:10], v[9:10], v[19:20]
	v_add_f64 v[11:12], v[11:12], v[21:22]
	ds_write_b128 v14, v[9:12]
.LBB7_11:
	s_or_b32 exec_lo, exec_lo, s1
	s_mov_b32 s1, exec_lo
	s_waitcnt lgkmcnt(0)
	s_barrier
	buffer_gl0_inv
	v_cmpx_gt_u32_e32 0x100, v0
	s_cbranch_execz .LBB7_13
; %bb.12:
	ds_read_b128 v[9:12], v14 offset:4096
	ds_read_b128 v[19:22], v14
	s_waitcnt lgkmcnt(0)
	v_add_f64 v[9:10], v[9:10], v[19:20]
	v_add_f64 v[11:12], v[11:12], v[21:22]
	ds_write_b128 v14, v[9:12]
.LBB7_13:
	s_or_b32 exec_lo, exec_lo, s1
	s_mov_b32 s1, exec_lo
	s_waitcnt lgkmcnt(0)
	s_barrier
	buffer_gl0_inv
	v_cmpx_gt_u32_e32 0x80, v0
	s_cbranch_execz .LBB7_15
; %bb.14:
	ds_read_b128 v[9:12], v14 offset:2048
	ds_read_b128 v[19:22], v14
	s_waitcnt lgkmcnt(0)
	v_add_f64 v[9:10], v[9:10], v[19:20]
	v_add_f64 v[11:12], v[11:12], v[21:22]
	ds_write_b128 v14, v[9:12]
.LBB7_15:
	s_or_b32 exec_lo, exec_lo, s1
	v_cmp_lt_u32_e64 s0, 63, v0
	v_cmp_gt_u32_e64 s1, 64, v0
	v_lshlrev_b32_e32 v0, 4, v18
	s_waitcnt lgkmcnt(0)
	s_barrier
	buffer_gl0_inv
	s_and_saveexec_b32 s2, s1
	s_cbranch_execz .LBB7_17
; %bb.16:
	ds_read_b128 v[9:12], v0 offset:1024
	ds_read_b128 v[15:18], v14
	s_waitcnt lgkmcnt(0)
	v_add_f64 v[9:10], v[9:10], v[15:16]
	v_add_f64 v[11:12], v[11:12], v[17:18]
	ds_write_b128 v14, v[9:12]
.LBB7_17:
	s_or_b32 exec_lo, exec_lo, s2
	s_nor_b32 s0, s0, vcc_lo
	s_and_b32 exec_lo, exec_lo, s0
	s_cbranch_execz .LBB7_22
; %bb.18:
	v_cmp_eq_f64_e32 vcc_lo, 0, v[5:6]
	v_cmp_eq_f64_e64 s0, 0, v[7:8]
	s_load_dwordx2 s[2:3], s[4:5], 0x50
	ds_read_b128 v[9:12], v0
	v_ashrrev_i32_e32 v14, 31, v13
	s_and_b32 s0, vcc_lo, s0
	s_and_saveexec_b32 s1, s0
	s_xor_b32 s0, exec_lo, s1
	s_cbranch_execz .LBB7_20
; %bb.19:
	s_waitcnt lgkmcnt(0)
	v_mul_f64 v[5:6], v[11:12], -v[3:4]
	v_mul_f64 v[7:8], v[1:2], v[11:12]
	v_fma_f64 v[0:1], v[1:2], v[9:10], v[5:6]
	v_fma_f64 v[2:3], v[3:4], v[9:10], v[7:8]
	v_lshlrev_b64 v[4:5], 4, v[13:14]
                                        ; implicit-def: $vgpr13
                                        ; implicit-def: $vgpr9_vgpr10
	v_add_co_u32 v4, vcc_lo, s2, v4
	v_add_co_ci_u32_e64 v5, null, s3, v5, vcc_lo
	global_store_dwordx4 v[4:5], v[0:3], off
                                        ; implicit-def: $vgpr7_vgpr8
                                        ; implicit-def: $vgpr1_vgpr2
.LBB7_20:
	s_andn2_saveexec_b32 s0, s0
	s_cbranch_execz .LBB7_22
; %bb.21:
	v_lshlrev_b64 v[13:14], 4, v[13:14]
	s_waitcnt lgkmcnt(0)
	v_add_co_u32 v17, vcc_lo, s2, v13
	v_add_co_ci_u32_e64 v18, null, s3, v14, vcc_lo
	global_load_dwordx4 v[13:16], v[17:18], off
	s_waitcnt vmcnt(0)
	v_mul_f64 v[19:20], v[15:16], -v[7:8]
	v_mul_f64 v[15:16], v[5:6], v[15:16]
	v_fma_f64 v[5:6], v[5:6], v[13:14], v[19:20]
	v_fma_f64 v[7:8], v[7:8], v[13:14], v[15:16]
	;; [unrolled: 1-line block ×4, first 2 shown]
	v_fma_f64 v[3:4], -v[3:4], v[11:12], v[5:6]
	v_fma_f64 v[5:6], v[1:2], v[11:12], v[7:8]
	global_store_dwordx4 v[17:18], v[3:6], off
.LBB7_22:
	s_endpgm
	.section	.rodata,"a",@progbits
	.p2align	6, 0x0
	.amdhsa_kernel _ZN9rocsparseL12gemvi_kernelILj1024ELj64Ei21rocsparse_complex_numIdEEEvT1_S3_NS_24const_host_device_scalarIT2_EEPKS5_lS3_S8_PKS3_S6_PS5_21rocsparse_index_base_b
		.amdhsa_group_segment_fixed_size 16384
		.amdhsa_private_segment_fixed_size 0
		.amdhsa_kernarg_size 96
		.amdhsa_user_sgpr_count 6
		.amdhsa_user_sgpr_private_segment_buffer 1
		.amdhsa_user_sgpr_dispatch_ptr 0
		.amdhsa_user_sgpr_queue_ptr 0
		.amdhsa_user_sgpr_kernarg_segment_ptr 1
		.amdhsa_user_sgpr_dispatch_id 0
		.amdhsa_user_sgpr_flat_scratch_init 0
		.amdhsa_user_sgpr_private_segment_size 0
		.amdhsa_wavefront_size32 1
		.amdhsa_uses_dynamic_stack 0
		.amdhsa_system_sgpr_private_segment_wavefront_offset 0
		.amdhsa_system_sgpr_workgroup_id_x 1
		.amdhsa_system_sgpr_workgroup_id_y 0
		.amdhsa_system_sgpr_workgroup_id_z 0
		.amdhsa_system_sgpr_workgroup_info 0
		.amdhsa_system_vgpr_workitem_id 0
		.amdhsa_next_free_vgpr 30
		.amdhsa_next_free_sgpr 16
		.amdhsa_reserve_vcc 1
		.amdhsa_reserve_flat_scratch 0
		.amdhsa_float_round_mode_32 0
		.amdhsa_float_round_mode_16_64 0
		.amdhsa_float_denorm_mode_32 3
		.amdhsa_float_denorm_mode_16_64 3
		.amdhsa_dx10_clamp 1
		.amdhsa_ieee_mode 1
		.amdhsa_fp16_overflow 0
		.amdhsa_workgroup_processor_mode 1
		.amdhsa_memory_ordered 1
		.amdhsa_forward_progress 1
		.amdhsa_shared_vgpr_count 0
		.amdhsa_exception_fp_ieee_invalid_op 0
		.amdhsa_exception_fp_denorm_src 0
		.amdhsa_exception_fp_ieee_div_zero 0
		.amdhsa_exception_fp_ieee_overflow 0
		.amdhsa_exception_fp_ieee_underflow 0
		.amdhsa_exception_fp_ieee_inexact 0
		.amdhsa_exception_int_div_zero 0
	.end_amdhsa_kernel
	.section	.text._ZN9rocsparseL12gemvi_kernelILj1024ELj64Ei21rocsparse_complex_numIdEEEvT1_S3_NS_24const_host_device_scalarIT2_EEPKS5_lS3_S8_PKS3_S6_PS5_21rocsparse_index_base_b,"axG",@progbits,_ZN9rocsparseL12gemvi_kernelILj1024ELj64Ei21rocsparse_complex_numIdEEEvT1_S3_NS_24const_host_device_scalarIT2_EEPKS5_lS3_S8_PKS3_S6_PS5_21rocsparse_index_base_b,comdat
.Lfunc_end7:
	.size	_ZN9rocsparseL12gemvi_kernelILj1024ELj64Ei21rocsparse_complex_numIdEEEvT1_S3_NS_24const_host_device_scalarIT2_EEPKS5_lS3_S8_PKS3_S6_PS5_21rocsparse_index_base_b, .Lfunc_end7-_ZN9rocsparseL12gemvi_kernelILj1024ELj64Ei21rocsparse_complex_numIdEEEvT1_S3_NS_24const_host_device_scalarIT2_EEPKS5_lS3_S8_PKS3_S6_PS5_21rocsparse_index_base_b
                                        ; -- End function
	.set _ZN9rocsparseL12gemvi_kernelILj1024ELj64Ei21rocsparse_complex_numIdEEEvT1_S3_NS_24const_host_device_scalarIT2_EEPKS5_lS3_S8_PKS3_S6_PS5_21rocsparse_index_base_b.num_vgpr, 30
	.set _ZN9rocsparseL12gemvi_kernelILj1024ELj64Ei21rocsparse_complex_numIdEEEvT1_S3_NS_24const_host_device_scalarIT2_EEPKS5_lS3_S8_PKS3_S6_PS5_21rocsparse_index_base_b.num_agpr, 0
	.set _ZN9rocsparseL12gemvi_kernelILj1024ELj64Ei21rocsparse_complex_numIdEEEvT1_S3_NS_24const_host_device_scalarIT2_EEPKS5_lS3_S8_PKS3_S6_PS5_21rocsparse_index_base_b.numbered_sgpr, 16
	.set _ZN9rocsparseL12gemvi_kernelILj1024ELj64Ei21rocsparse_complex_numIdEEEvT1_S3_NS_24const_host_device_scalarIT2_EEPKS5_lS3_S8_PKS3_S6_PS5_21rocsparse_index_base_b.num_named_barrier, 0
	.set _ZN9rocsparseL12gemvi_kernelILj1024ELj64Ei21rocsparse_complex_numIdEEEvT1_S3_NS_24const_host_device_scalarIT2_EEPKS5_lS3_S8_PKS3_S6_PS5_21rocsparse_index_base_b.private_seg_size, 0
	.set _ZN9rocsparseL12gemvi_kernelILj1024ELj64Ei21rocsparse_complex_numIdEEEvT1_S3_NS_24const_host_device_scalarIT2_EEPKS5_lS3_S8_PKS3_S6_PS5_21rocsparse_index_base_b.uses_vcc, 1
	.set _ZN9rocsparseL12gemvi_kernelILj1024ELj64Ei21rocsparse_complex_numIdEEEvT1_S3_NS_24const_host_device_scalarIT2_EEPKS5_lS3_S8_PKS3_S6_PS5_21rocsparse_index_base_b.uses_flat_scratch, 0
	.set _ZN9rocsparseL12gemvi_kernelILj1024ELj64Ei21rocsparse_complex_numIdEEEvT1_S3_NS_24const_host_device_scalarIT2_EEPKS5_lS3_S8_PKS3_S6_PS5_21rocsparse_index_base_b.has_dyn_sized_stack, 0
	.set _ZN9rocsparseL12gemvi_kernelILj1024ELj64Ei21rocsparse_complex_numIdEEEvT1_S3_NS_24const_host_device_scalarIT2_EEPKS5_lS3_S8_PKS3_S6_PS5_21rocsparse_index_base_b.has_recursion, 0
	.set _ZN9rocsparseL12gemvi_kernelILj1024ELj64Ei21rocsparse_complex_numIdEEEvT1_S3_NS_24const_host_device_scalarIT2_EEPKS5_lS3_S8_PKS3_S6_PS5_21rocsparse_index_base_b.has_indirect_call, 0
	.section	.AMDGPU.csdata,"",@progbits
; Kernel info:
; codeLenInByte = 1248
; TotalNumSgprs: 18
; NumVgprs: 30
; ScratchSize: 0
; MemoryBound: 0
; FloatMode: 240
; IeeeMode: 1
; LDSByteSize: 16384 bytes/workgroup (compile time only)
; SGPRBlocks: 0
; VGPRBlocks: 3
; NumSGPRsForWavesPerEU: 18
; NumVGPRsForWavesPerEU: 30
; Occupancy: 16
; WaveLimiterHint : 1
; COMPUTE_PGM_RSRC2:SCRATCH_EN: 0
; COMPUTE_PGM_RSRC2:USER_SGPR: 6
; COMPUTE_PGM_RSRC2:TRAP_HANDLER: 0
; COMPUTE_PGM_RSRC2:TGID_X_EN: 1
; COMPUTE_PGM_RSRC2:TGID_Y_EN: 0
; COMPUTE_PGM_RSRC2:TGID_Z_EN: 0
; COMPUTE_PGM_RSRC2:TIDIG_COMP_CNT: 0
	.section	.AMDGPU.gpr_maximums,"",@progbits
	.set amdgpu.max_num_vgpr, 0
	.set amdgpu.max_num_agpr, 0
	.set amdgpu.max_num_sgpr, 0
	.section	.AMDGPU.csdata,"",@progbits
	.type	__hip_cuid_f09a09f045ff360,@object ; @__hip_cuid_f09a09f045ff360
	.section	.bss,"aw",@nobits
	.globl	__hip_cuid_f09a09f045ff360
__hip_cuid_f09a09f045ff360:
	.byte	0                               ; 0x0
	.size	__hip_cuid_f09a09f045ff360, 1

	.ident	"AMD clang version 22.0.0git (https://github.com/RadeonOpenCompute/llvm-project roc-7.2.4 26084 f58b06dce1f9c15707c5f808fd002e18c2accf7e)"
	.section	".note.GNU-stack","",@progbits
	.addrsig
	.addrsig_sym __hip_cuid_f09a09f045ff360
	.amdgpu_metadata
---
amdhsa.kernels:
  - .args:
      - .offset:         0
        .size:           4
        .value_kind:     by_value
      - .offset:         4
        .size:           4
        .value_kind:     by_value
      - .offset:         8
        .size:           8
        .value_kind:     by_value
      - .actual_access:  read_only
        .address_space:  global
        .offset:         16
        .size:           8
        .value_kind:     global_buffer
      - .offset:         24
        .size:           8
        .value_kind:     by_value
      - .offset:         32
        .size:           4
        .value_kind:     by_value
      - .actual_access:  read_only
        .address_space:  global
        .offset:         40
        .size:           8
        .value_kind:     global_buffer
      - .actual_access:  read_only
        .address_space:  global
        .offset:         48
        .size:           8
        .value_kind:     global_buffer
      - .offset:         56
        .size:           8
        .value_kind:     by_value
      - .address_space:  global
        .offset:         64
        .size:           8
        .value_kind:     global_buffer
      - .offset:         72
        .size:           4
        .value_kind:     by_value
      - .offset:         76
        .size:           1
        .value_kind:     by_value
    .group_segment_fixed_size: 4096
    .kernarg_segment_align: 8
    .kernarg_segment_size: 80
    .language:       OpenCL C
    .language_version:
      - 2
      - 0
    .max_flat_workgroup_size: 1024
    .name:           _ZN9rocsparseL12gemvi_kernelILj1024ELj32EifEEvT1_S1_NS_24const_host_device_scalarIT2_EEPKS3_lS1_S6_PKS1_S4_PS3_21rocsparse_index_base_b
    .private_segment_fixed_size: 0
    .sgpr_count:     22
    .sgpr_spill_count: 0
    .symbol:         _ZN9rocsparseL12gemvi_kernelILj1024ELj32EifEEvT1_S1_NS_24const_host_device_scalarIT2_EEPKS3_lS1_S6_PKS1_S4_PS3_21rocsparse_index_base_b.kd
    .uniform_work_group_size: 1
    .uses_dynamic_stack: false
    .vgpr_count:     15
    .vgpr_spill_count: 0
    .wavefront_size: 32
    .workgroup_processor_mode: 1
  - .args:
      - .offset:         0
        .size:           4
        .value_kind:     by_value
      - .offset:         4
        .size:           4
        .value_kind:     by_value
      - .offset:         8
        .size:           8
        .value_kind:     by_value
      - .actual_access:  read_only
        .address_space:  global
        .offset:         16
        .size:           8
        .value_kind:     global_buffer
      - .offset:         24
        .size:           8
        .value_kind:     by_value
      - .offset:         32
        .size:           4
        .value_kind:     by_value
      - .actual_access:  read_only
        .address_space:  global
        .offset:         40
        .size:           8
        .value_kind:     global_buffer
      - .actual_access:  read_only
        .address_space:  global
        .offset:         48
        .size:           8
        .value_kind:     global_buffer
      - .offset:         56
        .size:           8
        .value_kind:     by_value
      - .address_space:  global
        .offset:         64
        .size:           8
        .value_kind:     global_buffer
      - .offset:         72
        .size:           4
        .value_kind:     by_value
      - .offset:         76
        .size:           1
        .value_kind:     by_value
    .group_segment_fixed_size: 4096
    .kernarg_segment_align: 8
    .kernarg_segment_size: 80
    .language:       OpenCL C
    .language_version:
      - 2
      - 0
    .max_flat_workgroup_size: 1024
    .name:           _ZN9rocsparseL12gemvi_kernelILj1024ELj64EifEEvT1_S1_NS_24const_host_device_scalarIT2_EEPKS3_lS1_S6_PKS1_S4_PS3_21rocsparse_index_base_b
    .private_segment_fixed_size: 0
    .sgpr_count:     22
    .sgpr_spill_count: 0
    .symbol:         _ZN9rocsparseL12gemvi_kernelILj1024ELj64EifEEvT1_S1_NS_24const_host_device_scalarIT2_EEPKS3_lS1_S6_PKS1_S4_PS3_21rocsparse_index_base_b.kd
    .uniform_work_group_size: 1
    .uses_dynamic_stack: false
    .vgpr_count:     15
    .vgpr_spill_count: 0
    .wavefront_size: 32
    .workgroup_processor_mode: 1
  - .args:
      - .offset:         0
        .size:           4
        .value_kind:     by_value
      - .offset:         4
        .size:           4
        .value_kind:     by_value
      - .offset:         8
        .size:           8
        .value_kind:     by_value
      - .actual_access:  read_only
        .address_space:  global
        .offset:         16
        .size:           8
        .value_kind:     global_buffer
      - .offset:         24
        .size:           8
        .value_kind:     by_value
      - .offset:         32
        .size:           4
        .value_kind:     by_value
      - .actual_access:  read_only
        .address_space:  global
        .offset:         40
        .size:           8
        .value_kind:     global_buffer
      - .actual_access:  read_only
        .address_space:  global
        .offset:         48
        .size:           8
        .value_kind:     global_buffer
      - .offset:         56
        .size:           8
        .value_kind:     by_value
      - .address_space:  global
        .offset:         64
        .size:           8
        .value_kind:     global_buffer
      - .offset:         72
        .size:           4
        .value_kind:     by_value
      - .offset:         76
        .size:           1
        .value_kind:     by_value
    .group_segment_fixed_size: 8192
    .kernarg_segment_align: 8
    .kernarg_segment_size: 80
    .language:       OpenCL C
    .language_version:
      - 2
      - 0
    .max_flat_workgroup_size: 1024
    .name:           _ZN9rocsparseL12gemvi_kernelILj1024ELj32EidEEvT1_S1_NS_24const_host_device_scalarIT2_EEPKS3_lS1_S6_PKS1_S4_PS3_21rocsparse_index_base_b
    .private_segment_fixed_size: 0
    .sgpr_count:     18
    .sgpr_spill_count: 0
    .symbol:         _ZN9rocsparseL12gemvi_kernelILj1024ELj32EidEEvT1_S1_NS_24const_host_device_scalarIT2_EEPKS3_lS1_S6_PKS1_S4_PS3_21rocsparse_index_base_b.kd
    .uniform_work_group_size: 1
    .uses_dynamic_stack: false
    .vgpr_count:     20
    .vgpr_spill_count: 0
    .wavefront_size: 32
    .workgroup_processor_mode: 1
  - .args:
      - .offset:         0
        .size:           4
        .value_kind:     by_value
      - .offset:         4
        .size:           4
        .value_kind:     by_value
      - .offset:         8
        .size:           8
        .value_kind:     by_value
      - .actual_access:  read_only
        .address_space:  global
        .offset:         16
        .size:           8
        .value_kind:     global_buffer
      - .offset:         24
        .size:           8
        .value_kind:     by_value
      - .offset:         32
        .size:           4
        .value_kind:     by_value
      - .actual_access:  read_only
        .address_space:  global
        .offset:         40
        .size:           8
        .value_kind:     global_buffer
      - .actual_access:  read_only
        .address_space:  global
        .offset:         48
        .size:           8
        .value_kind:     global_buffer
      - .offset:         56
        .size:           8
        .value_kind:     by_value
      - .address_space:  global
        .offset:         64
        .size:           8
        .value_kind:     global_buffer
      - .offset:         72
        .size:           4
        .value_kind:     by_value
      - .offset:         76
        .size:           1
        .value_kind:     by_value
    .group_segment_fixed_size: 8192
    .kernarg_segment_align: 8
    .kernarg_segment_size: 80
    .language:       OpenCL C
    .language_version:
      - 2
      - 0
    .max_flat_workgroup_size: 1024
    .name:           _ZN9rocsparseL12gemvi_kernelILj1024ELj64EidEEvT1_S1_NS_24const_host_device_scalarIT2_EEPKS3_lS1_S6_PKS1_S4_PS3_21rocsparse_index_base_b
    .private_segment_fixed_size: 0
    .sgpr_count:     18
    .sgpr_spill_count: 0
    .symbol:         _ZN9rocsparseL12gemvi_kernelILj1024ELj64EidEEvT1_S1_NS_24const_host_device_scalarIT2_EEPKS3_lS1_S6_PKS1_S4_PS3_21rocsparse_index_base_b.kd
    .uniform_work_group_size: 1
    .uses_dynamic_stack: false
    .vgpr_count:     20
    .vgpr_spill_count: 0
    .wavefront_size: 32
    .workgroup_processor_mode: 1
  - .args:
      - .offset:         0
        .size:           4
        .value_kind:     by_value
      - .offset:         4
        .size:           4
        .value_kind:     by_value
      - .offset:         8
        .size:           8
        .value_kind:     by_value
      - .actual_access:  read_only
        .address_space:  global
        .offset:         16
        .size:           8
        .value_kind:     global_buffer
      - .offset:         24
        .size:           8
        .value_kind:     by_value
      - .offset:         32
        .size:           4
        .value_kind:     by_value
      - .actual_access:  read_only
        .address_space:  global
        .offset:         40
        .size:           8
        .value_kind:     global_buffer
      - .actual_access:  read_only
        .address_space:  global
        .offset:         48
        .size:           8
        .value_kind:     global_buffer
      - .offset:         56
        .size:           8
        .value_kind:     by_value
      - .address_space:  global
        .offset:         64
        .size:           8
        .value_kind:     global_buffer
      - .offset:         72
        .size:           4
        .value_kind:     by_value
      - .offset:         76
        .size:           1
        .value_kind:     by_value
    .group_segment_fixed_size: 8192
    .kernarg_segment_align: 8
    .kernarg_segment_size: 80
    .language:       OpenCL C
    .language_version:
      - 2
      - 0
    .max_flat_workgroup_size: 1024
    .name:           _ZN9rocsparseL12gemvi_kernelILj1024ELj32Ei21rocsparse_complex_numIfEEEvT1_S3_NS_24const_host_device_scalarIT2_EEPKS5_lS3_S8_PKS3_S6_PS5_21rocsparse_index_base_b
    .private_segment_fixed_size: 0
    .sgpr_count:     18
    .sgpr_spill_count: 0
    .symbol:         _ZN9rocsparseL12gemvi_kernelILj1024ELj32Ei21rocsparse_complex_numIfEEEvT1_S3_NS_24const_host_device_scalarIT2_EEPKS5_lS3_S8_PKS3_S6_PS5_21rocsparse_index_base_b.kd
    .uniform_work_group_size: 1
    .uses_dynamic_stack: false
    .vgpr_count:     20
    .vgpr_spill_count: 0
    .wavefront_size: 32
    .workgroup_processor_mode: 1
  - .args:
      - .offset:         0
        .size:           4
        .value_kind:     by_value
      - .offset:         4
        .size:           4
        .value_kind:     by_value
      - .offset:         8
        .size:           8
        .value_kind:     by_value
      - .actual_access:  read_only
        .address_space:  global
        .offset:         16
        .size:           8
        .value_kind:     global_buffer
      - .offset:         24
        .size:           8
        .value_kind:     by_value
      - .offset:         32
        .size:           4
        .value_kind:     by_value
      - .actual_access:  read_only
        .address_space:  global
        .offset:         40
        .size:           8
        .value_kind:     global_buffer
      - .actual_access:  read_only
        .address_space:  global
        .offset:         48
        .size:           8
        .value_kind:     global_buffer
      - .offset:         56
        .size:           8
        .value_kind:     by_value
      - .address_space:  global
        .offset:         64
        .size:           8
        .value_kind:     global_buffer
      - .offset:         72
        .size:           4
        .value_kind:     by_value
      - .offset:         76
        .size:           1
        .value_kind:     by_value
    .group_segment_fixed_size: 8192
    .kernarg_segment_align: 8
    .kernarg_segment_size: 80
    .language:       OpenCL C
    .language_version:
      - 2
      - 0
    .max_flat_workgroup_size: 1024
    .name:           _ZN9rocsparseL12gemvi_kernelILj1024ELj64Ei21rocsparse_complex_numIfEEEvT1_S3_NS_24const_host_device_scalarIT2_EEPKS5_lS3_S8_PKS3_S6_PS5_21rocsparse_index_base_b
    .private_segment_fixed_size: 0
    .sgpr_count:     18
    .sgpr_spill_count: 0
    .symbol:         _ZN9rocsparseL12gemvi_kernelILj1024ELj64Ei21rocsparse_complex_numIfEEEvT1_S3_NS_24const_host_device_scalarIT2_EEPKS5_lS3_S8_PKS3_S6_PS5_21rocsparse_index_base_b.kd
    .uniform_work_group_size: 1
    .uses_dynamic_stack: false
    .vgpr_count:     20
    .vgpr_spill_count: 0
    .wavefront_size: 32
    .workgroup_processor_mode: 1
  - .args:
      - .offset:         0
        .size:           4
        .value_kind:     by_value
      - .offset:         4
        .size:           4
        .value_kind:     by_value
      - .offset:         8
        .size:           16
        .value_kind:     by_value
      - .actual_access:  read_only
        .address_space:  global
        .offset:         24
        .size:           8
        .value_kind:     global_buffer
      - .offset:         32
        .size:           8
        .value_kind:     by_value
      - .offset:         40
        .size:           4
        .value_kind:     by_value
      - .actual_access:  read_only
        .address_space:  global
        .offset:         48
        .size:           8
        .value_kind:     global_buffer
      - .actual_access:  read_only
        .address_space:  global
        .offset:         56
        .size:           8
        .value_kind:     global_buffer
      - .offset:         64
        .size:           16
        .value_kind:     by_value
      - .address_space:  global
        .offset:         80
        .size:           8
        .value_kind:     global_buffer
      - .offset:         88
        .size:           4
        .value_kind:     by_value
      - .offset:         92
        .size:           1
        .value_kind:     by_value
    .group_segment_fixed_size: 16384
    .kernarg_segment_align: 8
    .kernarg_segment_size: 96
    .language:       OpenCL C
    .language_version:
      - 2
      - 0
    .max_flat_workgroup_size: 1024
    .name:           _ZN9rocsparseL12gemvi_kernelILj1024ELj32Ei21rocsparse_complex_numIdEEEvT1_S3_NS_24const_host_device_scalarIT2_EEPKS5_lS3_S8_PKS3_S6_PS5_21rocsparse_index_base_b
    .private_segment_fixed_size: 0
    .sgpr_count:     18
    .sgpr_spill_count: 0
    .symbol:         _ZN9rocsparseL12gemvi_kernelILj1024ELj32Ei21rocsparse_complex_numIdEEEvT1_S3_NS_24const_host_device_scalarIT2_EEPKS5_lS3_S8_PKS3_S6_PS5_21rocsparse_index_base_b.kd
    .uniform_work_group_size: 1
    .uses_dynamic_stack: false
    .vgpr_count:     30
    .vgpr_spill_count: 0
    .wavefront_size: 32
    .workgroup_processor_mode: 1
  - .args:
      - .offset:         0
        .size:           4
        .value_kind:     by_value
      - .offset:         4
        .size:           4
        .value_kind:     by_value
      - .offset:         8
        .size:           16
        .value_kind:     by_value
      - .actual_access:  read_only
        .address_space:  global
        .offset:         24
        .size:           8
        .value_kind:     global_buffer
      - .offset:         32
        .size:           8
        .value_kind:     by_value
      - .offset:         40
        .size:           4
        .value_kind:     by_value
      - .actual_access:  read_only
        .address_space:  global
        .offset:         48
        .size:           8
        .value_kind:     global_buffer
      - .actual_access:  read_only
        .address_space:  global
        .offset:         56
        .size:           8
        .value_kind:     global_buffer
      - .offset:         64
        .size:           16
        .value_kind:     by_value
      - .address_space:  global
        .offset:         80
        .size:           8
        .value_kind:     global_buffer
      - .offset:         88
        .size:           4
        .value_kind:     by_value
      - .offset:         92
        .size:           1
        .value_kind:     by_value
    .group_segment_fixed_size: 16384
    .kernarg_segment_align: 8
    .kernarg_segment_size: 96
    .language:       OpenCL C
    .language_version:
      - 2
      - 0
    .max_flat_workgroup_size: 1024
    .name:           _ZN9rocsparseL12gemvi_kernelILj1024ELj64Ei21rocsparse_complex_numIdEEEvT1_S3_NS_24const_host_device_scalarIT2_EEPKS5_lS3_S8_PKS3_S6_PS5_21rocsparse_index_base_b
    .private_segment_fixed_size: 0
    .sgpr_count:     18
    .sgpr_spill_count: 0
    .symbol:         _ZN9rocsparseL12gemvi_kernelILj1024ELj64Ei21rocsparse_complex_numIdEEEvT1_S3_NS_24const_host_device_scalarIT2_EEPKS5_lS3_S8_PKS3_S6_PS5_21rocsparse_index_base_b.kd
    .uniform_work_group_size: 1
    .uses_dynamic_stack: false
    .vgpr_count:     30
    .vgpr_spill_count: 0
    .wavefront_size: 32
    .workgroup_processor_mode: 1
amdhsa.target:   amdgcn-amd-amdhsa--gfx1030
amdhsa.version:
  - 1
  - 2
...

	.end_amdgpu_metadata
